;; amdgpu-corpus repo=ROCm/rocFFT kind=compiled arch=gfx906 opt=O3
	.text
	.amdgcn_target "amdgcn-amd-amdhsa--gfx906"
	.amdhsa_code_object_version 6
	.protected	bluestein_single_fwd_len1782_dim1_half_op_CI_CI ; -- Begin function bluestein_single_fwd_len1782_dim1_half_op_CI_CI
	.globl	bluestein_single_fwd_len1782_dim1_half_op_CI_CI
	.p2align	8
	.type	bluestein_single_fwd_len1782_dim1_half_op_CI_CI,@function
bluestein_single_fwd_len1782_dim1_half_op_CI_CI: ; @bluestein_single_fwd_len1782_dim1_half_op_CI_CI
; %bb.0:
	s_load_dwordx4 s[0:3], s[4:5], 0x28
	v_mul_u32_u24_e32 v1, 0x296, v0
	v_add_u32_sdwa v2, s6, v1 dst_sel:DWORD dst_unused:UNUSED_PAD src0_sel:DWORD src1_sel:WORD_1
	v_mov_b32_e32 v3, 0
	s_waitcnt lgkmcnt(0)
	v_cmp_gt_u64_e32 vcc, s[0:1], v[2:3]
	s_and_saveexec_b64 s[0:1], vcc
	s_cbranch_execz .LBB0_15
; %bb.1:
	s_load_dwordx4 s[16:19], s[4:5], 0x18
	s_movk_i32 s0, 0x63
	v_mul_lo_u16_sdwa v1, v1, s0 dst_sel:DWORD dst_unused:UNUSED_PAD src0_sel:WORD_1 src1_sel:DWORD
	v_sub_u16_e32 v74, v0, v1
	v_lshlrev_b32_e32 v63, 2, v74
	s_waitcnt lgkmcnt(0)
	s_load_dwordx4 s[12:15], s[16:17], 0x0
	s_waitcnt lgkmcnt(0)
	v_mad_u64_u32 v[0:1], s[0:1], s14, v2, 0
	v_mad_u64_u32 v[3:4], s[0:1], s12, v74, 0
	;; [unrolled: 1-line block ×3, first 2 shown]
	s_load_dwordx2 s[14:15], s[4:5], 0x0
	v_mad_u64_u32 v[6:7], s[0:1], s13, v74, v[4:5]
	v_mov_b32_e32 v1, v5
	v_lshlrev_b64 v[0:1], 2, v[0:1]
	v_mov_b32_e32 v7, s3
	v_mov_b32_e32 v4, v6
	v_add_co_u32_e32 v5, vcc, s2, v0
	v_addc_co_u32_e32 v6, vcc, v7, v1, vcc
	v_lshlrev_b64 v[0:1], 2, v[3:4]
	s_mul_i32 s0, s13, 0xa2
	v_add_co_u32_e32 v3, vcc, v5, v0
	v_addc_co_u32_e32 v4, vcc, v6, v1, vcc
	s_mul_hi_u32 s1, s12, 0xa2
	global_load_dword v7, v[3:4], off
	s_waitcnt lgkmcnt(0)
	v_mov_b32_e32 v1, s15
	v_add_co_u32_e64 v0, s[2:3], s14, v63
	s_add_i32 s1, s1, s0
	s_mul_i32 s0, s12, 0xa2
	v_addc_co_u32_e64 v1, vcc, 0, v1, s[2:3]
	global_load_dword v75, v63, s[14:15]
	s_lshl_b64 s[16:17], s[0:1], 2
	v_mov_b32_e32 v8, s17
	v_add_co_u32_e32 v3, vcc, s16, v3
	v_addc_co_u32_e32 v4, vcc, v4, v8, vcc
	global_load_dword v9, v[3:4], off
	global_load_dword v73, v63, s[14:15] offset:648
	v_add_co_u32_e32 v3, vcc, s16, v3
	v_addc_co_u32_e32 v4, vcc, v4, v8, vcc
	global_load_dword v10, v[3:4], off
	global_load_dword v72, v63, s[14:15] offset:1296
	;; [unrolled: 4-line block ×5, first 2 shown]
	v_add_co_u32_e32 v3, vcc, s16, v3
	v_addc_co_u32_e32 v4, vcc, v4, v8, vcc
	v_add_co_u32_e32 v5, vcc, s16, v3
	global_load_dword v14, v[3:4], off
	global_load_dword v68, v63, s[14:15] offset:3888
	v_addc_co_u32_e32 v6, vcc, v4, v8, vcc
	s_movk_i32 s0, 0x1000
	v_add_co_u32_e32 v3, vcc, s0, v0
	global_load_dword v15, v[5:6], off
	v_addc_co_u32_e32 v4, vcc, 0, v1, vcc
	global_load_dword v67, v[3:4], off offset:440
	v_add_co_u32_e32 v5, vcc, s16, v5
	v_addc_co_u32_e32 v6, vcc, v6, v8, vcc
	global_load_dword v16, v[5:6], off
	global_load_dword v66, v[3:4], off offset:1088
	v_add_co_u32_e32 v5, vcc, s16, v5
	v_addc_co_u32_e32 v6, vcc, v6, v8, vcc
	global_load_dword v17, v[5:6], off
	;; [unrolled: 4-line block ×3, first 2 shown]
	global_load_dword v64, v[3:4], off offset:2384
	s_load_dwordx2 s[6:7], s[4:5], 0x38
	s_load_dwordx4 s[8:11], s[18:19], 0x0
	v_cmp_gt_u16_e64 s[0:1], 63, v74
	s_waitcnt vmcnt(21)
	v_lshrrev_b32_e32 v8, 16, v7
	s_waitcnt vmcnt(20)
	v_mul_f16_sdwa v19, v75, v8 dst_sel:DWORD dst_unused:UNUSED_PAD src0_sel:WORD_1 src1_sel:DWORD
	v_fma_f16 v19, v75, v7, v19
	v_mul_f16_sdwa v7, v75, v7 dst_sel:DWORD dst_unused:UNUSED_PAD src0_sel:WORD_1 src1_sel:DWORD
	v_fma_f16 v7, v75, v8, -v7
	v_pack_b32_f16 v7, v19, v7
	s_waitcnt vmcnt(19)
	v_lshrrev_b32_e32 v8, 16, v9
	s_waitcnt vmcnt(18)
	v_mul_f16_sdwa v19, v73, v8 dst_sel:DWORD dst_unused:UNUSED_PAD src0_sel:WORD_1 src1_sel:DWORD
	v_fma_f16 v19, v73, v9, v19
	v_mul_f16_sdwa v9, v73, v9 dst_sel:DWORD dst_unused:UNUSED_PAD src0_sel:WORD_1 src1_sel:DWORD
	v_fma_f16 v8, v73, v8, -v9
	v_pack_b32_f16 v8, v19, v8
	ds_write2_b32 v63, v7, v8 offset1:162
	s_waitcnt vmcnt(17)
	v_lshrrev_b32_e32 v7, 16, v10
	s_waitcnt vmcnt(16)
	v_mul_f16_sdwa v8, v72, v7 dst_sel:DWORD dst_unused:UNUSED_PAD src0_sel:WORD_1 src1_sel:DWORD
	v_mul_f16_sdwa v9, v72, v10 dst_sel:DWORD dst_unused:UNUSED_PAD src0_sel:WORD_1 src1_sel:DWORD
	v_fma_f16 v8, v72, v10, v8
	v_fma_f16 v7, v72, v7, -v9
	v_pack_b32_f16 v8, v8, v7
	s_waitcnt vmcnt(15)
	v_lshrrev_b32_e32 v7, 16, v11
	s_waitcnt vmcnt(14)
	v_mul_f16_sdwa v9, v71, v7 dst_sel:DWORD dst_unused:UNUSED_PAD src0_sel:WORD_1 src1_sel:DWORD
	v_mul_f16_sdwa v10, v71, v11 dst_sel:DWORD dst_unused:UNUSED_PAD src0_sel:WORD_1 src1_sel:DWORD
	v_fma_f16 v9, v71, v11, v9
	v_fma_f16 v7, v71, v7, -v10
	v_pack_b32_f16 v9, v9, v7
	v_add_u32_e32 v7, 0x400, v63
	ds_write2_b32 v7, v8, v9 offset0:68 offset1:230
	s_waitcnt vmcnt(13)
	v_lshrrev_b32_e32 v8, 16, v12
	s_waitcnt vmcnt(12)
	v_mul_f16_sdwa v9, v70, v8 dst_sel:DWORD dst_unused:UNUSED_PAD src0_sel:WORD_1 src1_sel:DWORD
	v_mul_f16_sdwa v10, v70, v12 dst_sel:DWORD dst_unused:UNUSED_PAD src0_sel:WORD_1 src1_sel:DWORD
	v_fma_f16 v9, v70, v12, v9
	v_fma_f16 v8, v70, v8, -v10
	v_pack_b32_f16 v9, v9, v8
	s_waitcnt vmcnt(11)
	v_lshrrev_b32_e32 v8, 16, v13
	s_waitcnt vmcnt(10)
	v_mul_f16_sdwa v10, v69, v8 dst_sel:DWORD dst_unused:UNUSED_PAD src0_sel:WORD_1 src1_sel:DWORD
	v_mul_f16_sdwa v11, v69, v13 dst_sel:DWORD dst_unused:UNUSED_PAD src0_sel:WORD_1 src1_sel:DWORD
	v_fma_f16 v10, v69, v13, v10
	v_fma_f16 v8, v69, v8, -v11
	v_pack_b32_f16 v10, v10, v8
	v_add_u32_e32 v8, 0xa00, v63
	ds_write2_b32 v8, v9, v10 offset0:8 offset1:170
	;; [unrolled: 18-line block ×4, first 2 shown]
	s_waitcnt vmcnt(1)
	v_lshrrev_b32_e32 v11, 16, v18
	s_waitcnt vmcnt(0)
	v_mul_f16_sdwa v12, v64, v11 dst_sel:DWORD dst_unused:UNUSED_PAD src0_sel:WORD_1 src1_sel:DWORD
	v_mul_f16_sdwa v13, v64, v18 dst_sel:DWORD dst_unused:UNUSED_PAD src0_sel:WORD_1 src1_sel:DWORD
	v_fma_f16 v12, v64, v18, v12
	v_fma_f16 v11, v64, v11, -v13
	v_pack_b32_f16 v11, v12, v11
	ds_write_b32 v63, v11 offset:6480
	s_and_saveexec_b64 s[18:19], s[0:1]
	s_cbranch_execz .LBB0_3
; %bb.2:
	v_mov_b32_e32 v11, 0xffffe83c
	v_mad_u64_u32 v[5:6], s[20:21], s12, v11, v[5:6]
	s_mulk_i32 s13, 0xe83c
	s_sub_i32 s12, s13, s12
	v_add_u32_e32 v6, s12, v6
	global_load_dword v11, v[5:6], off
	global_load_dword v12, v[0:1], off offset:396
	v_mov_b32_e32 v13, s17
	v_add_co_u32_e32 v5, vcc, s16, v5
	v_addc_co_u32_e32 v6, vcc, v6, v13, vcc
	global_load_dword v14, v[5:6], off
	global_load_dword v15, v[0:1], off offset:1044
	v_add_co_u32_e32 v5, vcc, s16, v5
	v_addc_co_u32_e32 v6, vcc, v6, v13, vcc
	global_load_dword v16, v[5:6], off
	global_load_dword v17, v[0:1], off offset:1692
	;; [unrolled: 4-line block ×10, first 2 shown]
	v_add_u32_e32 v3, 0x100, v63
	s_waitcnt vmcnt(21)
	v_lshrrev_b32_e32 v4, 16, v11
	s_waitcnt vmcnt(20)
	v_mul_f16_sdwa v5, v12, v11 dst_sel:DWORD dst_unused:UNUSED_PAD src0_sel:WORD_1 src1_sel:DWORD
	v_mul_f16_sdwa v6, v12, v4 dst_sel:DWORD dst_unused:UNUSED_PAD src0_sel:WORD_1 src1_sel:DWORD
	v_fma_f16 v4, v12, v4, -v5
	v_fma_f16 v6, v12, v11, v6
	v_pack_b32_f16 v4, v6, v4
	s_waitcnt vmcnt(19)
	v_lshrrev_b32_e32 v5, 16, v14
	s_waitcnt vmcnt(18)
	v_mul_f16_sdwa v33, v15, v14 dst_sel:DWORD dst_unused:UNUSED_PAD src0_sel:WORD_1 src1_sel:DWORD
	v_mul_f16_sdwa v11, v15, v5 dst_sel:DWORD dst_unused:UNUSED_PAD src0_sel:WORD_1 src1_sel:DWORD
	v_fma_f16 v5, v15, v5, -v33
	v_fma_f16 v6, v15, v14, v11
	s_waitcnt vmcnt(17)
	v_lshrrev_b32_e32 v12, 16, v16
	s_waitcnt vmcnt(16)
	v_mul_f16_sdwa v11, v17, v12 dst_sel:DWORD dst_unused:UNUSED_PAD src0_sel:WORD_1 src1_sel:DWORD
	v_pack_b32_f16 v5, v6, v5
	v_mul_f16_sdwa v33, v17, v16 dst_sel:DWORD dst_unused:UNUSED_PAD src0_sel:WORD_1 src1_sel:DWORD
	v_fma_f16 v6, v17, v16, v11
	s_waitcnt vmcnt(15)
	v_lshrrev_b32_e32 v14, 16, v18
	s_waitcnt vmcnt(14)
	v_mul_f16_sdwa v11, v19, v14 dst_sel:DWORD dst_unused:UNUSED_PAD src0_sel:WORD_1 src1_sel:DWORD
	ds_write2_b32 v3, v4, v5 offset0:35 offset1:197
	v_mul_f16_sdwa v5, v19, v18 dst_sel:DWORD dst_unused:UNUSED_PAD src0_sel:WORD_1 src1_sel:DWORD
	v_fma_f16 v12, v17, v12, -v33
	v_fma_f16 v4, v19, v18, v11
	v_fma_f16 v5, v19, v14, -v5
	v_pack_b32_f16 v3, v6, v12
	v_pack_b32_f16 v4, v4, v5
	v_add_u32_e32 v5, 0x600, v63
	ds_write2_b32 v5, v3, v4 offset0:39 offset1:201
	s_waitcnt vmcnt(13)
	v_lshrrev_b32_e32 v3, 16, v20
	s_waitcnt vmcnt(12)
	v_mul_f16_sdwa v4, v21, v3 dst_sel:DWORD dst_unused:UNUSED_PAD src0_sel:WORD_1 src1_sel:DWORD
	v_mul_f16_sdwa v5, v21, v20 dst_sel:DWORD dst_unused:UNUSED_PAD src0_sel:WORD_1 src1_sel:DWORD
	v_fma_f16 v4, v21, v20, v4
	v_fma_f16 v3, v21, v3, -v5
	v_pack_b32_f16 v3, v4, v3
	s_waitcnt vmcnt(11)
	v_lshrrev_b32_e32 v4, 16, v22
	s_waitcnt vmcnt(10)
	v_mul_f16_sdwa v5, v23, v4 dst_sel:DWORD dst_unused:UNUSED_PAD src0_sel:WORD_1 src1_sel:DWORD
	v_mul_f16_sdwa v6, v23, v22 dst_sel:DWORD dst_unused:UNUSED_PAD src0_sel:WORD_1 src1_sel:DWORD
	v_fma_f16 v5, v23, v22, v5
	v_fma_f16 v4, v23, v4, -v6
	v_pack_b32_f16 v4, v5, v4
	v_add_u32_e32 v5, 0xb00, v63
	ds_write2_b32 v5, v3, v4 offset0:43 offset1:205
	s_waitcnt vmcnt(9)
	v_lshrrev_b32_e32 v3, 16, v24
	s_waitcnt vmcnt(8)
	v_mul_f16_sdwa v4, v25, v3 dst_sel:DWORD dst_unused:UNUSED_PAD src0_sel:WORD_1 src1_sel:DWORD
	v_mul_f16_sdwa v5, v25, v24 dst_sel:DWORD dst_unused:UNUSED_PAD src0_sel:WORD_1 src1_sel:DWORD
	v_fma_f16 v4, v25, v24, v4
	v_fma_f16 v3, v25, v3, -v5
	v_pack_b32_f16 v3, v4, v3
	s_waitcnt vmcnt(7)
	v_lshrrev_b32_e32 v4, 16, v26
	s_waitcnt vmcnt(6)
	v_mul_f16_sdwa v5, v27, v4 dst_sel:DWORD dst_unused:UNUSED_PAD src0_sel:WORD_1 src1_sel:DWORD
	v_mul_f16_sdwa v6, v27, v26 dst_sel:DWORD dst_unused:UNUSED_PAD src0_sel:WORD_1 src1_sel:DWORD
	v_fma_f16 v5, v27, v26, v5
	v_fma_f16 v4, v27, v4, -v6
	;; [unrolled: 18-line block ×3, first 2 shown]
	v_pack_b32_f16 v4, v5, v4
	v_add_u32_e32 v5, 0x1500, v63
	ds_write2_b32 v5, v3, v4 offset0:51 offset1:213
	s_waitcnt vmcnt(1)
	v_lshrrev_b32_e32 v3, 16, v13
	s_waitcnt vmcnt(0)
	v_mul_f16_sdwa v4, v32, v3 dst_sel:DWORD dst_unused:UNUSED_PAD src0_sel:WORD_1 src1_sel:DWORD
	v_mul_f16_sdwa v5, v32, v13 dst_sel:DWORD dst_unused:UNUSED_PAD src0_sel:WORD_1 src1_sel:DWORD
	v_fma_f16 v4, v32, v13, v4
	v_fma_f16 v3, v32, v3, -v5
	v_pack_b32_f16 v3, v4, v3
	ds_write_b32 v63, v3 offset:6876
.LBB0_3:
	s_or_b64 exec, exec, s[18:19]
	s_waitcnt lgkmcnt(0)
	s_barrier
	ds_read2_b32 v[3:4], v63 offset1:162
	ds_read2_b32 v[19:20], v7 offset0:68 offset1:230
	ds_read2_b32 v[5:6], v8 offset0:8 offset1:170
	;; [unrolled: 1-line block ×4, first 2 shown]
	ds_read_b32 v24, v63 offset:6480
	s_load_dwordx2 s[4:5], s[4:5], 0x8
	v_mov_b32_e32 v7, 0
                                        ; implicit-def: $vgpr23
                                        ; implicit-def: $vgpr16
                                        ; implicit-def: $vgpr14
                                        ; implicit-def: $vgpr12
                                        ; implicit-def: $vgpr10
	s_and_saveexec_b64 s[12:13], s[0:1]
	s_cbranch_execz .LBB0_5
; %bb.4:
	v_add_u32_e32 v7, 0x100, v63
	v_add_u32_e32 v9, 0x600, v63
	;; [unrolled: 1-line block ×5, first 2 shown]
	ds_read2_b32 v[7:8], v7 offset0:35 offset1:197
	ds_read2_b32 v[9:10], v9 offset0:39 offset1:201
	ds_read2_b32 v[11:12], v11 offset0:43 offset1:205
	ds_read2_b32 v[13:14], v13 offset0:47 offset1:209
	ds_read2_b32 v[15:16], v15 offset0:51 offset1:213
	ds_read_b32 v23, v63 offset:6876
.LBB0_5:
	s_or_b64 exec, exec, s[12:13]
	s_waitcnt lgkmcnt(0)
	v_pk_add_f16 v25, v3, v4
	v_pk_add_f16 v25, v25, v19
	;; [unrolled: 1-line block ×5, first 2 shown]
	s_mov_b32 s23, 0xb853
	v_pk_add_f16 v25, v25, v17
	v_pk_add_f16 v26, v24, v4
	v_pk_add_f16 v4, v4, v24 neg_lo:[0,1] neg_hi:[0,1]
	s_movk_i32 s16, 0x3abb
	s_mov_b32 s27, 0xbb47
	v_pk_add_f16 v25, v25, v18
	v_mul_f16_sdwa v27, v4, s23 dst_sel:DWORD dst_unused:UNUSED_PAD src0_sel:WORD_1 src1_sel:DWORD
	v_pk_add_f16 v77, v22, v19
	v_pk_add_f16 v19, v19, v22 neg_lo:[0,1] neg_hi:[0,1]
	s_mov_b32 s14, 0x3abb36a6
	s_movk_i32 s17, 0x36a6
	s_mov_b32 s20, 0xbbeb
	v_pk_add_f16 v25, v25, v21
	v_fma_f16 v28, v26, s16, -v27
	v_mul_f16_sdwa v82, v19, s27 dst_sel:DWORD dst_unused:UNUSED_PAD src0_sel:WORD_1 src1_sel:DWORD
	v_pk_add_f16 v85, v21, v20
	v_pk_add_f16 v20, v20, v21 neg_lo:[0,1] neg_hi:[0,1]
	s_mov_b32 s12, 0xbb47b853
	s_mov_b32 s18, 0xb08e
	;; [unrolled: 1-line block ×3, first 2 shown]
	v_pk_add_f16 v25, v25, v22
	v_add_f16_e32 v28, v3, v28
	v_pk_mul_f16 v29, v26, s14
	v_fma_f16 v22, v77, s17, -v82
	v_mul_f16_sdwa v86, v20, s20 dst_sel:DWORD dst_unused:UNUSED_PAD src0_sel:WORD_1 src1_sel:DWORD
	s_mov_b32 s13, 0xba0cbb47
	s_mov_b32 s26, 0xb08ebbad
	v_pk_fma_f16 v30, v4, s12, v29 op_sel:[0,0,1] op_sel_hi:[1,1,0] neg_lo:[1,0,0] neg_hi:[1,0,0]
	v_pk_fma_f16 v29, v4, s12, v29 op_sel:[0,0,1] op_sel_hi:[1,1,0]
	s_mov_b32 s22, 0xffff
	v_add_f16_e32 v22, v22, v28
	v_pk_mul_f16 v28, v77, s25
	v_fma_f16 v21, v85, s18, -v86
	s_mov_b32 s24, 0x3482bbeb
	v_bfi_b32 v31, s22, v29, v30
	v_pk_fma_f16 v84, v19, s13, v28 op_sel:[0,0,1] op_sel_hi:[1,1,0] neg_lo:[1,0,0] neg_hi:[1,0,0]
	v_pk_fma_f16 v28, v19, s13, v28 op_sel:[0,0,1] op_sel_hi:[1,1,0]
	v_add_f16_e32 v21, v21, v22
	v_pk_mul_f16 v22, v85, s26
	v_pk_add_f16 v31, v3, v31 op_sel:[1,0] op_sel_hi:[0,1]
	v_lshrrev_b32_e32 v32, 16, v26
	v_mul_f16_e32 v33, 0xbb47, v4
	v_bfi_b32 v35, s22, v28, v84
	v_pk_add_f16 v87, v18, v5
	v_pk_add_f16 v5, v5, v18 neg_lo:[0,1] neg_hi:[0,1]
	v_pk_fma_f16 v92, v20, s24, v22 op_sel:[0,0,1] op_sel_hi:[1,1,0] neg_lo:[1,0,0] neg_hi:[1,0,0]
	v_pk_fma_f16 v39, v20, s24, v22 op_sel:[0,0,1] op_sel_hi:[1,1,0]
	s_mov_b32 s28, 0xba0c
	s_mov_b32 s19, 0xb93d
	v_fma_f16 v34, v32, s17, v33
	v_pk_add_f16 v31, v35, v31
	v_lshrrev_b32_e32 v36, 16, v77
	v_mul_f16_e32 v38, 0xba0c, v19
	v_pk_add_f16 v88, v17, v6
	v_pk_add_f16 v6, v6, v17 neg_lo:[0,1] neg_hi:[0,1]
	v_bfi_b32 v17, s22, v39, v92
	v_mul_f16_sdwa v93, v5, s28 dst_sel:DWORD dst_unused:UNUSED_PAD src0_sel:WORD_1 src1_sel:DWORD
	s_mov_b32 s21, 0xbbad
	v_add_f16_sdwa v34, v3, v34 dst_sel:DWORD dst_unused:UNUSED_PAD src0_sel:WORD_1 src1_sel:DWORD
	v_fma_f16 v35, v36, s19, v38
	v_pk_add_f16 v17, v17, v31
	v_lshrrev_b32_e32 v31, 16, v85
	v_mul_f16_e32 v40, 0x3482, v20
	v_fma_f16 v22, v87, s19, -v93
	s_mov_b32 s35, 0xb93db08e
	v_add_f16_e32 v34, v35, v34
	v_fma_f16 v18, v31, s21, v40
	v_add_f16_e32 v21, v22, v21
	s_mov_b32 s31, 0x3bebba0c
	v_pk_mul_f16 v22, v87, s35
	v_add_f16_e32 v18, v18, v34
	v_pk_fma_f16 v94, v5, s31, v22 op_sel:[0,0,1] op_sel_hi:[1,1,0] neg_lo:[1,0,0] neg_hi:[1,0,0]
	v_pk_fma_f16 v34, v5, s31, v22 op_sel:[0,0,1] op_sel_hi:[1,1,0]
	v_bfi_b32 v22, s22, v34, v94
	v_lshrrev_b32_e32 v41, 16, v87
	v_mul_f16_e32 v42, 0x3beb, v5
	s_mov_b32 s29, 0xb482
	v_pk_add_f16 v17, v22, v17
	v_fma_f16 v22, v41, s18, v42
	v_mul_f16_sdwa v95, v6, s29 dst_sel:DWORD dst_unused:UNUSED_PAD src0_sel:WORD_1 src1_sel:DWORD
	s_mov_b32 s36, 0xbbad3abb
	v_add_f16_e32 v18, v22, v18
	v_fma_f16 v22, v88, s21, -v95
	s_mov_b32 s33, 0x3853b482
	v_pk_mul_f16 v43, v88, s36
	v_add_f16_e32 v21, v22, v21
	v_pk_fma_f16 v96, v6, s33, v43 op_sel:[0,0,1] op_sel_hi:[1,1,0] neg_lo:[1,0,0] neg_hi:[1,0,0]
	v_pk_fma_f16 v22, v6, s33, v43 op_sel:[0,0,1] op_sel_hi:[1,1,0]
	v_bfi_b32 v22, s22, v22, v96
	v_lshrrev_b32_e32 v44, 16, v88
	v_mul_f16_e32 v45, 0x3853, v6
	v_pk_add_f16 v17, v22, v17
	v_fma_f16 v22, v44, s16, v45
	v_add_f16_e32 v18, v22, v18
	v_alignbit_b32 v18, v18, v17, 16
	v_pack_b32_f16 v17, v21, v17
	v_mul_lo_u16_e32 v21, 11, v74
	v_lshlrev_b32_e32 v76, 2, v21
	s_barrier
	ds_write2_b32 v76, v17, v18 offset0:1 offset1:2
	s_movk_i32 s37, 0x3482
	v_mul_f16_sdwa v17, v4, s20 dst_sel:DWORD dst_unused:UNUSED_PAD src0_sel:WORD_1 src1_sel:DWORD
	v_fma_f16 v18, v26, s18, -v17
	v_mul_f16_sdwa v46, v19, s37 dst_sel:DWORD dst_unused:UNUSED_PAD src0_sel:WORD_1 src1_sel:DWORD
	v_add_f16_e32 v18, v3, v18
	v_fma_f16 v21, v77, s21, -v46
	v_add_f16_e32 v18, v21, v18
	v_mul_f16_e32 v21, 0xbbeb, v4
	v_fma_f16 v22, v32, s18, v21
	v_mul_f16_e32 v47, 0x3482, v19
	v_add_f16_sdwa v22, v3, v22 dst_sel:DWORD dst_unused:UNUSED_PAD src0_sel:WORD_1 src1_sel:DWORD
	v_fma_f16 v35, v36, s21, v47
	v_add_f16_e32 v22, v35, v22
	s_movk_i32 s38, 0x3beb
	v_mul_f16_sdwa v35, v4, s28 dst_sel:DWORD dst_unused:UNUSED_PAD src0_sel:WORD_1 src1_sel:DWORD
	v_fma_f16 v37, v26, s19, -v35
	v_mul_f16_sdwa v48, v19, s38 dst_sel:DWORD dst_unused:UNUSED_PAD src0_sel:WORD_1 src1_sel:DWORD
	v_add_f16_e32 v37, v3, v37
	v_fma_f16 v49, v77, s18, -v48
	v_add_f16_e32 v37, v49, v37
	v_mul_f16_e32 v49, 0xba0c, v4
	v_fma_f16 v50, v32, s19, v49
	v_mul_f16_e32 v51, 0x3beb, v19
	v_add_f16_sdwa v50, v3, v50 dst_sel:DWORD dst_unused:UNUSED_PAD src0_sel:WORD_1 src1_sel:DWORD
	v_fma_f16 v52, v36, s18, v51
	s_movk_i32 s30, 0x3b47
	v_add_f16_e32 v50, v52, v50
	v_mul_f16_sdwa v52, v20, s30 dst_sel:DWORD dst_unused:UNUSED_PAD src0_sel:WORD_1 src1_sel:DWORD
	v_fma_f16 v53, v85, s17, -v52
	v_add_f16_e32 v18, v53, v18
	v_mul_f16_e32 v53, 0x3b47, v20
	v_fma_f16 v54, v31, s17, v53
	v_add_f16_e32 v22, v54, v22
	v_mul_f16_sdwa v54, v20, s23 dst_sel:DWORD dst_unused:UNUSED_PAD src0_sel:WORD_1 src1_sel:DWORD
	v_fma_f16 v55, v85, s16, -v54
	v_add_f16_e32 v37, v55, v37
	v_mul_f16_e32 v55, 0xb853, v20
	v_fma_f16 v56, v31, s16, v55
	;; [unrolled: 6-line block ×6, first 2 shown]
	v_add_f16_e32 v50, v79, v50
	v_pack_b32_f16 v37, v37, v50
	v_pack_b32_f16 v18, v18, v22
	ds_write2_b32 v76, v18, v37 offset0:3 offset1:4
	v_fma_f16 v18, v32, s17, -v33
	v_fma_f16 v21, v32, s18, -v21
	;; [unrolled: 1-line block ×3, first 2 shown]
	v_fma_f16 v27, v26, s16, v27
	v_fma_f16 v17, v26, s18, v17
	;; [unrolled: 1-line block ×3, first 2 shown]
	v_pk_mul_f16 v26, v26, s21 op_sel_hi:[1,0]
	v_pk_fma_f16 v33, v4, s29, v26 op_sel:[0,0,1] op_sel_hi:[1,0,0] neg_lo:[1,0,0] neg_hi:[1,0,0]
	v_pk_fma_f16 v4, v4, s29, v26 op_sel:[0,0,1] op_sel_hi:[1,0,0]
	v_add_f16_e32 v97, v3, v27
	v_add_f16_sdwa v27, v3, v18 dst_sel:DWORD dst_unused:UNUSED_PAD src0_sel:WORD_1 src1_sel:DWORD
	v_add_f16_sdwa v18, v3, v22 dst_sel:DWORD dst_unused:UNUSED_PAD src0_sel:WORD_1 src1_sel:DWORD
	s_movk_i32 s34, 0x3853
	v_pk_mul_f16 v22, v77, s16 op_sel_hi:[1,0]
	v_add_f16_sdwa v98, v3, v30 dst_sel:DWORD dst_unused:UNUSED_PAD src0_sel:WORD_1 src1_sel:DWORD
	v_pk_add_f16 v4, v3, v4 op_sel:[1,0] op_sel_hi:[0,1]
	v_pk_fma_f16 v30, v19, s34, v22 op_sel:[0,0,1] op_sel_hi:[1,0,0] neg_lo:[1,0,0] neg_hi:[1,0,0]
	v_pk_fma_f16 v19, v19, s34, v22 op_sel:[0,0,1] op_sel_hi:[1,0,0]
	v_pk_add_f16 v4, v19, v4
	v_pk_mul_f16 v19, v85, s19 op_sel_hi:[1,0]
	v_alignbit_b32 v26, s0, v29, 16
	v_add_f16_sdwa v49, v3, v21 dst_sel:DWORD dst_unused:UNUSED_PAD src0_sel:WORD_1 src1_sel:DWORD
	v_alignbit_b32 v21, s0, v33, 16
	v_pk_fma_f16 v22, v20, s28, v19 op_sel:[0,0,1] op_sel_hi:[1,0,0] neg_lo:[1,0,0] neg_hi:[1,0,0]
	v_pk_fma_f16 v19, v20, s28, v19 op_sel:[0,0,1] op_sel_hi:[1,0,0]
	v_pk_add_f16 v26, v3, v26
	v_add_f16_e32 v29, v3, v17
	v_add_f16_e32 v17, v3, v32
	v_pk_add_f16 v21, v3, v21
	v_alignbit_b32 v3, s0, v3, 16
	v_pk_add_f16 v4, v19, v4
	v_pk_mul_f16 v19, v87, s17 op_sel_hi:[1,0]
	v_pk_add_f16 v3, v3, v33
	v_alignbit_b32 v32, s0, v30, 16
	v_pk_fma_f16 v20, v5, s30, v19 op_sel:[0,0,1] op_sel_hi:[1,0,0] neg_lo:[1,0,0] neg_hi:[1,0,0]
	v_pk_fma_f16 v5, v5, s30, v19 op_sel:[0,0,1] op_sel_hi:[1,0,0]
	v_pk_add_f16 v21, v32, v21
	v_pk_add_f16 v3, v30, v3
	v_alignbit_b32 v30, s0, v22, 16
	v_pk_add_f16 v4, v5, v4
	v_pk_mul_f16 v5, v88, s18 op_sel_hi:[1,0]
	v_pk_add_f16 v21, v30, v21
	v_pk_add_f16 v3, v22, v3
	v_alignbit_b32 v22, s0, v20, 16
	v_pk_fma_f16 v19, v6, s20, v5 op_sel:[0,0,1] op_sel_hi:[1,0,0] neg_lo:[1,0,0] neg_hi:[1,0,0]
	v_pk_add_f16 v21, v22, v21
	v_pk_add_f16 v3, v20, v3
	v_alignbit_b32 v20, s0, v19, 16
	v_pk_fma_f16 v5, v6, s20, v5 op_sel:[0,0,1] op_sel_hi:[1,0,0]
	v_pk_add_f16 v20, v20, v21
	v_pk_add_f16 v4, v5, v4
	;; [unrolled: 1-line block ×3, first 2 shown]
	v_alignbit_b32 v3, v3, v4, 16
	v_pack_b32_f16 v4, v20, v4
	ds_write2_b32 v76, v4, v3 offset0:5 offset1:6
	v_fma_f16 v4, v77, s18, v48
	v_add_f16_e32 v4, v4, v17
	v_fma_f16 v5, v36, s18, -v51
	v_fma_f16 v17, v85, s16, v54
	v_add_f16_e32 v5, v5, v18
	v_add_f16_e32 v4, v17, v4
	v_fma_f16 v17, v31, s16, -v55
	v_add_f16_e32 v5, v17, v5
	v_fma_f16 v17, v87, s21, v58
	v_add_f16_e32 v4, v17, v4
	v_fma_f16 v17, v41, s21, -v59
	v_add_f16_e32 v5, v17, v5
	v_fma_f16 v17, v88, s17, v62
	v_add_f16_e32 v4, v17, v4
	v_fma_f16 v17, v44, s17, -v78
	v_add_f16_e32 v5, v17, v5
	v_pk_add_f16 v19, v8, v23 neg_lo:[0,1] neg_hi:[0,1]
	v_pk_add_f16 v3, v25, v24
	v_pack_b32_f16 v4, v4, v5
	v_pk_add_f16 v17, v23, v8
	v_mul_f16_sdwa v21, v19, s23 dst_sel:DWORD dst_unused:UNUSED_PAD src0_sel:WORD_1 src1_sel:DWORD
	v_pk_add_f16 v20, v9, v16 neg_lo:[0,1] neg_hi:[0,1]
	ds_write2_b32 v76, v3, v4 offset1:7
	v_fma_f16 v3, v17, s16, v21
	v_pk_add_f16 v18, v16, v9
	v_mul_f16_sdwa v22, v20, s27 dst_sel:DWORD dst_unused:UNUSED_PAD src0_sel:WORD_1 src1_sel:DWORD
	v_add_f16_e32 v3, v3, v7
	v_fma_f16 v4, v18, s17, v22
	v_lshrrev_b32_e32 v37, 16, v17
	v_mul_f16_e32 v24, 0xbb47, v19
	v_add_f16_e32 v3, v4, v3
	v_fma_f16 v4, v37, s17, -v24
	v_lshrrev_b32_e32 v35, 16, v18
	v_mul_f16_e32 v25, 0xba0c, v20
	v_add_f16_sdwa v4, v4, v7 dst_sel:DWORD dst_unused:UNUSED_PAD src0_sel:DWORD src1_sel:WORD_1
	v_fma_f16 v5, v35, s19, -v25
	v_add_f16_e32 v4, v5, v4
	v_alignbit_b32 v5, s0, v28, 16
	v_pk_add_f16 v5, v5, v26
	v_fma_f16 v26, v36, s19, -v38
	v_add_f16_e32 v26, v26, v27
	v_fma_f16 v27, v77, s21, v46
	v_add_f16_e32 v27, v27, v29
	v_alignbit_b32 v29, s0, v39, 16
	v_pk_add_f16 v5, v29, v5
	v_fma_f16 v29, v31, s21, -v40
	v_fma_f16 v28, v36, s21, -v47
	v_add_f16_e32 v26, v29, v26
	v_fma_f16 v29, v85, s17, v52
	v_add_f16_e32 v28, v28, v49
	v_add_f16_e32 v27, v29, v27
	v_fma_f16 v29, v31, s17, -v53
	v_add_f16_e32 v28, v29, v28
	v_fma_f16 v29, v41, s18, -v42
	v_add_f16_e32 v26, v29, v26
	v_fma_f16 v29, v87, s16, v56
	v_fma_f16 v30, v44, s16, -v45
	v_add_f16_e32 v27, v29, v27
	v_add_f16_e32 v26, v30, v26
	v_fma_f16 v30, v88, s19, v60
	v_fma_f16 v29, v41, s16, -v57
	v_add_f16_e32 v27, v30, v27
	v_pk_mul_f16 v30, v6, s33
	v_mul_f16_e32 v6, 0xba0c, v6
	v_lshlrev_b32_e32 v5, 16, v5
	v_pack_b32_f16 v29, v29, v43
	v_bfi_b32 v28, s22, v28, v30
	v_pk_add_f16 v6, v61, v6 neg_lo:[0,1] neg_hi:[0,1]
	v_pk_add_f16 v5, v34, v5
	v_pk_add_f16 v28, v29, v28
	v_bfi_b32 v5, s22, v6, v5
	v_mul_f16_sdwa v31, v19, s20 dst_sel:DWORD dst_unused:UNUSED_PAD src0_sel:WORD_1 src1_sel:DWORD
	v_pk_add_f16 v5, v5, v28
	v_mul_f16_e32 v36, 0xbbeb, v19
	v_alignbit_b32 v6, v26, v5, 16
	v_pack_b32_f16 v5, v27, v5
	v_fma_f16 v26, v17, s18, v31
	v_mul_f16_sdwa v33, v20, s37 dst_sel:DWORD dst_unused:UNUSED_PAD src0_sel:WORD_1 src1_sel:DWORD
	v_add_f16_e32 v26, v26, v7
	ds_write2_b32 v76, v5, v6 offset0:8 offset1:9
	v_fma_f16 v5, v18, s21, v33
	v_fma_f16 v6, v37, s18, -v36
	v_mul_f16_e32 v40, 0x3482, v20
	v_add_f16_e32 v5, v5, v26
	v_add_f16_sdwa v6, v6, v7 dst_sel:DWORD dst_unused:UNUSED_PAD src0_sel:DWORD src1_sel:WORD_1
	v_fma_f16 v26, v35, s21, -v40
	v_mul_f16_sdwa v42, v19, s28 dst_sel:DWORD dst_unused:UNUSED_PAD src0_sel:WORD_1 src1_sel:DWORD
	v_add_f16_e32 v6, v26, v6
	v_fma_f16 v26, v17, s19, v42
	v_mul_f16_sdwa v43, v20, s38 dst_sel:DWORD dst_unused:UNUSED_PAD src0_sel:WORD_1 src1_sel:DWORD
	v_add_f16_e32 v26, v26, v7
	v_fma_f16 v27, v18, s18, v43
	v_mul_f16_e32 v47, 0xba0c, v19
	v_add_f16_e32 v28, v27, v26
	v_fma_f16 v26, v37, s19, -v47
	v_mul_f16_e32 v49, 0x3beb, v20
	v_add_f16_sdwa v26, v26, v7 dst_sel:DWORD dst_unused:UNUSED_PAD src0_sel:DWORD src1_sel:WORD_1
	v_fma_f16 v27, v35, s18, -v49
	v_add_f16_e32 v29, v27, v26
	v_pk_add_f16 v27, v10, v15 neg_lo:[0,1] neg_hi:[0,1]
	v_pk_add_f16 v26, v15, v10
	v_mul_f16_sdwa v32, v27, s20 dst_sel:DWORD dst_unused:UNUSED_PAD src0_sel:WORD_1 src1_sel:DWORD
	v_fma_f16 v30, v26, s18, v32
	v_lshrrev_b32_e32 v59, 16, v26
	v_mul_f16_e32 v38, 0x3482, v27
	v_add_f16_e32 v3, v30, v3
	v_fma_f16 v30, v59, s21, -v38
	v_mul_f16_sdwa v41, v27, s30 dst_sel:DWORD dst_unused:UNUSED_PAD src0_sel:WORD_1 src1_sel:DWORD
	v_add_f16_e32 v4, v30, v4
	v_fma_f16 v30, v26, s17, v41
	v_mul_f16_e32 v46, 0x3b47, v27
	v_add_f16_e32 v5, v30, v5
	v_fma_f16 v30, v59, s17, -v46
	v_mul_f16_sdwa v52, v27, s23 dst_sel:DWORD dst_unused:UNUSED_PAD src0_sel:WORD_1 src1_sel:DWORD
	v_add_f16_e32 v6, v30, v6
	v_fma_f16 v30, v26, s16, v52
	v_mul_f16_e32 v57, 0xb853, v27
	v_add_f16_e32 v30, v30, v28
	v_fma_f16 v28, v59, s16, -v57
	v_add_f16_e32 v34, v28, v29
	v_pk_add_f16 v29, v11, v14 neg_lo:[0,1] neg_hi:[0,1]
	v_pk_add_f16 v28, v14, v11
	v_mul_f16_sdwa v39, v29, s28 dst_sel:DWORD dst_unused:UNUSED_PAD src0_sel:WORD_1 src1_sel:DWORD
	v_fma_f16 v44, v28, s19, v39
	v_add_f16_e32 v3, v44, v3
	v_lshrrev_b32_e32 v83, 16, v28
	v_mul_f16_e32 v44, 0x3beb, v29
	v_fma_f16 v45, v83, s18, -v44
	v_mul_f16_sdwa v48, v29, s23 dst_sel:DWORD dst_unused:UNUSED_PAD src0_sel:WORD_1 src1_sel:DWORD
	v_add_f16_e32 v79, v45, v4
	v_fma_f16 v4, v28, s16, v48
	v_mul_f16_e32 v55, 0xb853, v29
	v_add_f16_e32 v4, v4, v5
	v_fma_f16 v5, v83, s16, -v55
	v_mul_f16_sdwa v60, v29, s29 dst_sel:DWORD dst_unused:UNUSED_PAD src0_sel:WORD_1 src1_sel:DWORD
	v_add_f16_e32 v5, v5, v6
	v_fma_f16 v6, v28, s21, v60
	v_mul_f16_e32 v62, 0xb482, v29
	v_add_f16_e32 v6, v6, v30
	v_fma_f16 v30, v83, s21, -v62
	v_add_f16_e32 v81, v30, v34
	v_pk_add_f16 v34, v12, v13 neg_lo:[0,1] neg_hi:[0,1]
	v_pk_add_f16 v30, v13, v12
	v_mul_f16_sdwa v45, v34, s29 dst_sel:DWORD dst_unused:UNUSED_PAD src0_sel:WORD_1 src1_sel:DWORD
	v_fma_f16 v50, v30, s21, v45
	v_pk_mul_f16 v99, v17, s14
	v_add_f16_e32 v78, v50, v3
	v_pk_fma_f16 v50, v19, s12, v99 op_sel:[0,0,1] op_sel_hi:[1,1,0]
	v_pk_mul_f16 v100, v18, s25
	v_pk_fma_f16 v51, v20, s13, v100 op_sel:[0,0,1] op_sel_hi:[1,1,0]
	v_add_f16_sdwa v3, v50, v7 dst_sel:DWORD dst_unused:UNUSED_PAD src0_sel:WORD_1 src1_sel:DWORD
	v_pk_mul_f16 v101, v26, s26
	v_add_f16_sdwa v3, v51, v3 dst_sel:DWORD dst_unused:UNUSED_PAD src0_sel:WORD_1 src1_sel:DWORD
	v_pk_fma_f16 v53, v27, s24, v101 op_sel:[0,0,1] op_sel_hi:[1,1,0]
	v_pk_mul_f16 v102, v28, s35
	v_add_f16_sdwa v3, v53, v3 dst_sel:DWORD dst_unused:UNUSED_PAD src0_sel:WORD_1 src1_sel:DWORD
	v_pk_fma_f16 v54, v29, s31, v102 op_sel:[0,0,1] op_sel_hi:[1,1,0]
	v_mul_f16_sdwa v61, v34, s28 dst_sel:DWORD dst_unused:UNUSED_PAD src0_sel:WORD_1 src1_sel:DWORD
	v_pk_mul_f16 v103, v30, s36
	v_add_f16_sdwa v58, v54, v3 dst_sel:DWORD dst_unused:UNUSED_PAD src0_sel:WORD_1 src1_sel:DWORD
	v_fma_f16 v3, v30, s19, v61
	v_pk_fma_f16 v56, v34, s33, v103 op_sel:[0,0,1] op_sel_hi:[1,1,0]
	v_add_f16_e32 v3, v3, v4
	v_add_f16_sdwa v4, v56, v58 dst_sel:DWORD dst_unused:UNUSED_PAD src0_sel:WORD_1 src1_sel:DWORD
	v_lshrrev_b32_e32 v91, 16, v30
	v_mul_f16_e32 v58, 0x3853, v34
	v_fma_f16 v80, v91, s16, -v58
	v_mul_f16_e32 v89, 0xba0c, v34
	v_add_f16_e32 v79, v80, v79
	v_fma_f16 v80, v91, s19, -v89
	v_mul_f16_e32 v90, 0x3b47, v34
	v_add_f16_e32 v80, v80, v5
	v_fma_f16 v5, v91, s17, -v90
	v_add_f16_e32 v81, v5, v81
	v_fma_f16 v5, v77, s17, v82
	v_add_f16_e32 v5, v5, v97
	v_fma_f16 v77, v85, s18, v86
	;; [unrolled: 2-line block ×4, first 2 shown]
	v_add_f16_e32 v5, v77, v5
	v_add_f16_e32 v77, v84, v98
	;; [unrolled: 1-line block ×5, first 2 shown]
	v_pack_b32_f16 v5, v5, v77
	v_pk_fma_f16 v84, v19, s12, v99 op_sel:[0,0,1] op_sel_hi:[1,1,0] neg_lo:[1,0,0] neg_hi:[1,0,0]
	ds_write_b32 v76, v5 offset:40
	v_pk_fma_f16 v85, v20, s13, v100 op_sel:[0,0,1] op_sel_hi:[1,1,0] neg_lo:[1,0,0] neg_hi:[1,0,0]
	v_add_f16_sdwa v5, v84, v7 dst_sel:DWORD dst_unused:UNUSED_PAD src0_sel:DWORD src1_sel:WORD_1
	v_pk_fma_f16 v86, v27, s24, v101 op_sel:[0,0,1] op_sel_hi:[1,1,0] neg_lo:[1,0,0] neg_hi:[1,0,0]
	v_add_f16_e32 v5, v85, v5
	v_pk_fma_f16 v87, v29, s31, v102 op_sel:[0,0,1] op_sel_hi:[1,1,0] neg_lo:[1,0,0] neg_hi:[1,0,0]
	v_add_f16_e32 v5, v86, v5
	v_pk_fma_f16 v88, v34, s33, v103 op_sel:[0,0,1] op_sel_hi:[1,1,0] neg_lo:[1,0,0] neg_hi:[1,0,0]
	v_add_f16_e32 v5, v87, v5
	v_mul_f16_sdwa v92, v34, s30 dst_sel:DWORD dst_unused:UNUSED_PAD src0_sel:WORD_1 src1_sel:DWORD
	v_add_f16_e32 v82, v88, v5
	v_fma_f16 v5, v30, s17, v92
	v_add_f16_e32 v6, v5, v6
	v_add_co_u32_e32 v5, vcc, 0x63, v74
	s_movk_i32 s14, 0x63
	v_mul_u32_u24_e32 v77, 11, v5
	s_and_saveexec_b64 s[12:13], s[0:1]
	s_cbranch_execz .LBB0_7
; %bb.6:
	v_pk_add_f16 v8, v8, v7
	v_pk_add_f16 v8, v9, v8
	v_pk_add_f16 v8, v10, v8
	v_mul_f16_e32 v93, 0x3abb, v17
	v_mul_f16_e32 v94, 0x36a6, v37
	v_pk_add_f16 v8, v11, v8
	v_mul_f16_e32 v95, 0xb08e, v17
	v_mul_f16_e32 v96, 0xb08e, v37
	;; [unrolled: 1-line block ×5, first 2 shown]
	v_add_f16_e32 v24, v24, v94
	v_sub_f16_e32 v21, v93, v21
	v_pk_add_f16 v8, v12, v8
	v_mul_f16_e32 v100, 0xbbad, v18
	v_mul_f16_e32 v101, 0xbbad, v35
	;; [unrolled: 1-line block ×5, first 2 shown]
	v_add_f16_e32 v37, v47, v37
	v_sub_f16_e32 v31, v95, v31
	v_add_f16_sdwa v24, v24, v7 dst_sel:DWORD dst_unused:UNUSED_PAD src0_sel:DWORD src1_sel:WORD_1
	v_add_f16_e32 v25, v25, v99
	v_add_f16_e32 v21, v21, v7
	v_sub_f16_e32 v22, v98, v22
	v_pk_add_f16 v8, v13, v8
	v_mul_f16_e32 v105, 0x36a6, v26
	v_mul_f16_e32 v106, 0x36a6, v59
	;; [unrolled: 1-line block ×5, first 2 shown]
	v_add_f16_sdwa v37, v37, v7 dst_sel:DWORD dst_unused:UNUSED_PAD src0_sel:DWORD src1_sel:WORD_1
	v_add_f16_e32 v35, v49, v35
	v_add_f16_e32 v31, v31, v7
	v_sub_f16_e32 v33, v100, v33
	v_add_f16_e32 v24, v25, v24
	v_add_f16_e32 v25, v38, v104
	;; [unrolled: 1-line block ×3, first 2 shown]
	v_sub_f16_e32 v22, v103, v32
	v_pk_add_f16 v8, v14, v8
	v_mul_f16_e32 v110, 0x3abb, v28
	v_mul_f16_e32 v111, 0x3abb, v83
	;; [unrolled: 1-line block ×5, first 2 shown]
	v_add_f16_e32 v35, v35, v37
	v_add_f16_e32 v37, v57, v59
	;; [unrolled: 1-line block ×4, first 2 shown]
	v_sub_f16_e32 v33, v105, v41
	v_add_f16_e32 v24, v25, v24
	v_add_f16_e32 v25, v44, v109
	;; [unrolled: 1-line block ×3, first 2 shown]
	v_sub_f16_e32 v22, v108, v39
	v_pk_add_f16 v8, v15, v8
	v_mul_f16_e32 v115, 0xb93d, v30
	v_mul_f16_e32 v116, 0xb93d, v91
	;; [unrolled: 1-line block ×3, first 2 shown]
	v_add_f16_e32 v35, v37, v35
	v_add_f16_e32 v37, v62, v83
	v_add_f16_sdwa v36, v36, v7 dst_sel:DWORD dst_unused:UNUSED_PAD src0_sel:DWORD src1_sel:WORD_1
	v_add_f16_e32 v40, v40, v101
	v_add_f16_e32 v31, v33, v31
	v_sub_f16_e32 v33, v110, v48
	v_add_f16_e32 v24, v25, v24
	v_add_f16_e32 v25, v58, v114
	;; [unrolled: 1-line block ×3, first 2 shown]
	v_sub_f16_e32 v22, v113, v45
	v_pk_add_f16 v8, v16, v8
	v_mul_f16_e32 v97, 0xb93d, v17
	v_add_f16_e32 v35, v37, v35
	v_add_f16_e32 v37, v90, v91
	;; [unrolled: 1-line block ×5, first 2 shown]
	v_sub_f16_e32 v33, v115, v61
	v_add_f16_e32 v24, v25, v24
	v_bfi_b32 v25, s22, v50, v84
	v_add_f16_e32 v21, v22, v21
	v_lshlrev_b32_e32 v22, 2, v77
	v_pk_add_f16 v8, v23, v8
	v_mul_f16_e32 v102, 0xb08e, v18
	v_add_f16_e32 v35, v37, v35
	v_sub_f16_e32 v37, v97, v42
	v_add_f16_e32 v36, v40, v36
	v_add_f16_e32 v40, v55, v111
	v_add_f16_e32 v31, v33, v31
	v_bfi_b32 v33, s22, v51, v85
	ds_write_b32 v22, v8
	v_pk_add_f16 v8, v25, v7 op_sel:[0,1] op_sel_hi:[1,0]
	v_mul_f16_e32 v107, 0x3abb, v26
	v_add_f16_e32 v37, v37, v7
	v_sub_f16_e32 v42, v102, v43
	v_add_f16_e32 v36, v40, v36
	v_add_f16_e32 v40, v89, v116
	v_bfi_b32 v38, s22, v53, v86
	v_pk_add_f16 v8, v33, v8
	v_mul_f16_e32 v112, 0xbbad, v28
	v_add_f16_e32 v37, v42, v37
	v_sub_f16_e32 v42, v107, v52
	v_add_f16_e32 v36, v40, v36
	v_bfi_b32 v40, s22, v54, v87
	v_pk_add_f16 v8, v38, v8
	v_mul_f16_e32 v117, 0x36a6, v30
	v_add_f16_e32 v37, v42, v37
	v_sub_f16_e32 v42, v112, v60
	v_bfi_b32 v41, s22, v56, v88
	v_pk_add_f16 v8, v40, v8
	v_add_f16_e32 v37, v42, v37
	v_sub_f16_e32 v42, v117, v92
	v_pk_add_f16 v8, v41, v8
	v_add_f16_e32 v37, v42, v37
	v_alignbit_b32 v9, v24, v8, 16
	v_pack_b32_f16 v8, v21, v8
	ds_write2_b32 v22, v8, v9 offset0:1 offset1:2
	v_pack_b32_f16 v8, v37, v35
	v_pack_b32_f16 v9, v31, v36
	ds_write2_b32 v22, v9, v8 offset0:3 offset1:4
	v_pk_mul_f16 v8, v19, s29 op_sel_hi:[1,0]
	v_pk_mul_f16 v9, v20, s34 op_sel_hi:[1,0]
	v_pk_fma_f16 v13, v17, s21, v8 op_sel:[0,0,1] op_sel_hi:[1,0,0] neg_lo:[0,0,1] neg_hi:[0,0,1]
	v_pk_fma_f16 v8, v17, s21, v8 op_sel:[0,0,1] op_sel_hi:[1,0,0]
	v_bfi_b32 v14, s22, v13, v8
	v_pk_fma_f16 v15, v18, s16, v9 op_sel:[0,0,1] op_sel_hi:[1,0,0] neg_lo:[0,0,1] neg_hi:[0,0,1]
	v_pk_fma_f16 v9, v18, s16, v9 op_sel:[0,0,1] op_sel_hi:[1,0,0]
	v_pk_mul_f16 v10, v27, s28 op_sel_hi:[1,0]
	v_pk_add_f16 v14, v14, v7
	v_bfi_b32 v16, s22, v15, v9
	v_pk_add_f16 v14, v16, v14
	v_pk_fma_f16 v16, v26, s19, v10 op_sel:[0,0,1] op_sel_hi:[1,0,0] neg_lo:[0,0,1] neg_hi:[0,0,1]
	v_pk_fma_f16 v10, v26, s19, v10 op_sel:[0,0,1] op_sel_hi:[1,0,0]
	v_pk_mul_f16 v11, v29, s30 op_sel_hi:[1,0]
	v_bfi_b32 v17, s22, v16, v10
	v_bfi_b32 v8, s22, v8, v13
	v_pk_add_f16 v14, v17, v14
	v_pk_fma_f16 v17, v28, s17, v11 op_sel:[0,0,1] op_sel_hi:[1,0,0] neg_lo:[0,0,1] neg_hi:[0,0,1]
	v_pk_fma_f16 v11, v28, s17, v11 op_sel:[0,0,1] op_sel_hi:[1,0,0]
	v_pk_add_f16 v7, v8, v7
	v_bfi_b32 v8, s22, v9, v15
	v_pk_mul_f16 v12, v34, s20 op_sel_hi:[1,0]
	v_bfi_b32 v18, s22, v17, v11
	v_pk_add_f16 v7, v8, v7
	v_bfi_b32 v8, s22, v10, v16
	v_pk_add_f16 v14, v18, v14
	v_pk_fma_f16 v18, v30, s18, v12 op_sel:[0,0,1] op_sel_hi:[1,0,0] neg_lo:[0,0,1] neg_hi:[0,0,1]
	v_pk_fma_f16 v12, v30, s18, v12 op_sel:[0,0,1] op_sel_hi:[1,0,0]
	v_pk_add_f16 v7, v8, v7
	v_bfi_b32 v8, s22, v11, v17
	v_bfi_b32 v19, s22, v18, v12
	v_pk_add_f16 v7, v8, v7
	v_bfi_b32 v8, s22, v12, v18
	v_pk_add_f16 v14, v19, v14
	v_pk_add_f16 v7, v8, v7
	s_mov_b32 s16, 0x5040100
	ds_write2_b32 v22, v14, v7 offset0:5 offset1:6
	v_perm_b32 v7, v80, v3, s16
	v_perm_b32 v8, v81, v6, s16
	ds_write2_b32 v22, v8, v7 offset0:7 offset1:8
	v_perm_b32 v7, v82, v78, s16
	v_perm_b32 v8, v79, v4, s16
	ds_write2_b32 v22, v8, v7 offset0:9 offset1:10
.LBB0_7:
	s_or_b64 exec, exec, s[12:13]
	s_movk_i32 s12, 0xc6
	v_add_co_u32_e32 v45, vcc, s12, v74
	s_movk_i32 s12, 0x75
	v_mul_lo_u16_sdwa v7, v74, s12 dst_sel:DWORD dst_unused:UNUSED_PAD src0_sel:BYTE_0 src1_sel:DWORD
	v_sub_u16_sdwa v8, v74, v7 dst_sel:DWORD dst_unused:UNUSED_PAD src0_sel:DWORD src1_sel:BYTE_1
	v_lshrrev_b16_e32 v8, 1, v8
	v_and_b32_e32 v8, 0x7f, v8
	v_add_u16_sdwa v7, v8, v7 dst_sel:DWORD dst_unused:UNUSED_PAD src0_sel:DWORD src1_sel:BYTE_1
	v_mul_lo_u16_sdwa v9, v5, s12 dst_sel:DWORD dst_unused:UNUSED_PAD src0_sel:BYTE_0 src1_sel:DWORD
	v_lshrrev_b16_e32 v36, 3, v7
	v_sub_u16_sdwa v8, v5, v9 dst_sel:DWORD dst_unused:UNUSED_PAD src0_sel:DWORD src1_sel:BYTE_1
	v_mul_lo_u16_e32 v7, 11, v36
	v_lshrrev_b16_e32 v10, 1, v8
	v_sub_u16_e32 v7, v74, v7
	v_and_b32_e32 v10, 0x7f, v10
	v_and_b32_e32 v38, 0xff, v7
	v_add_u16_sdwa v9, v10, v9 dst_sel:DWORD dst_unused:UNUSED_PAD src0_sel:DWORD src1_sel:BYTE_1
	v_lshlrev_b32_e32 v7, 3, v38
	v_lshrrev_b16_e32 v42, 3, v9
	s_waitcnt lgkmcnt(0)
	s_barrier
	global_load_dwordx2 v[7:8], v7, s[4:5]
	v_mul_lo_u16_e32 v9, 11, v42
	v_sub_u16_e32 v9, v5, v9
	s_mov_b32 s12, 0xba2f
	v_and_b32_e32 v43, 0xff, v9
	v_mul_u32_u24_sdwa v11, v45, s12 dst_sel:DWORD dst_unused:UNUSED_PAD src0_sel:WORD_0 src1_sel:DWORD
	v_lshlrev_b32_e32 v9, 3, v43
	global_load_dwordx2 v[9:10], v9, s[4:5]
	v_lshrrev_b32_e32 v44, 19, v11
	v_mul_lo_u16_e32 v11, 11, v44
	v_sub_u16_e32 v46, v45, v11
	v_add_u32_e32 v35, 0x129, v74
	v_lshlrev_b16_e32 v11, 1, v46
	v_mul_u32_u24_sdwa v13, v35, s12 dst_sel:DWORD dst_unused:UNUSED_PAD src0_sel:WORD_0 src1_sel:DWORD
	v_lshlrev_b32_e32 v11, 2, v11
	global_load_dwordx2 v[11:12], v11, s[4:5]
	v_lshrrev_b32_e32 v47, 19, v13
	v_mul_lo_u16_e32 v13, 11, v47
	v_sub_u16_e32 v48, v35, v13
	v_add_u32_e32 v37, 0x18c, v74
	v_lshlrev_b16_e32 v13, 1, v48
	;; [unrolled: 8-line block ×3, first 2 shown]
	v_mul_u32_u24_sdwa v17, v39, s12 dst_sel:DWORD dst_unused:UNUSED_PAD src0_sel:WORD_0 src1_sel:DWORD
	v_lshlrev_b32_e32 v15, 2, v15
	v_lshrrev_b32_e32 v51, 19, v17
	global_load_dwordx2 v[15:16], v15, s[4:5]
	v_mul_lo_u16_e32 v17, 11, v51
	v_sub_u16_e32 v52, v39, v17
	v_lshlrev_b16_e32 v17, 1, v52
	v_lshlrev_b32_e32 v17, 2, v17
	global_load_dwordx2 v[17:18], v17, s[4:5]
	v_add_u32_e32 v53, 0x800, v63
	ds_read2_b32 v[21:22], v53 offset0:82 offset1:181
	v_add_u32_e32 v56, 0x1200, v63
	ds_read2_b32 v[23:24], v56 offset0:36 offset1:135
	;; [unrolled: 2-line block ×3, first 2 shown]
	s_waitcnt lgkmcnt(2)
	v_lshrrev_b32_e32 v62, 16, v21
	v_add_u32_e32 v61, 0x1400, v63
	s_waitcnt lgkmcnt(1)
	v_lshrrev_b32_e32 v83, 16, v23
	v_lshrrev_b32_e32 v85, 16, v22
	ds_read2_b32 v[29:30], v61 offset0:106 offset1:205
	v_lshrrev_b32_e32 v86, 16, v24
	s_waitcnt lgkmcnt(1)
	v_lshrrev_b32_e32 v88, 16, v27
	v_add_u32_e32 v57, 0xe00, v63
	ds_read2_b32 v[33:34], v57 offset0:94 offset1:193
	s_waitcnt lgkmcnt(1)
	v_lshrrev_b32_e32 v89, 16, v29
	v_add_u32_e32 v58, 0x1800, v63
	v_lshrrev_b32_e32 v91, 16, v28
	ds_read2_b32 v[40:41], v58 offset0:48 offset1:147
	v_lshrrev_b32_e32 v92, 16, v30
	s_waitcnt lgkmcnt(1)
	v_lshrrev_b32_e32 v94, 16, v33
	ds_read2_b32 v[19:20], v63 offset1:99
	v_lshrrev_b32_e32 v97, 16, v34
	s_waitcnt lgkmcnt(1)
	v_lshrrev_b32_e32 v95, 16, v40
	v_lshrrev_b32_e32 v98, 16, v41
	v_add_u32_e32 v59, 0x200, v63
	s_waitcnt lgkmcnt(0)
	v_lshrrev_b32_e32 v60, 16, v19
	s_movk_i32 s12, 0x3aee
	s_mov_b32 s13, 0xbaee
	ds_read2_b32 v[25:26], v59 offset0:70 offset1:169
	v_lshrrev_b32_e32 v84, 16, v20
	v_add_u32_e32 v55, 0x400, v63
	ds_read2_b32 v[31:32], v55 offset0:140 offset1:239
	v_mul_u32_u24_e32 v36, 33, v36
	s_waitcnt lgkmcnt(1)
	v_lshrrev_b32_e32 v87, 16, v25
	v_lshrrev_b32_e32 v90, 16, v26
	s_waitcnt lgkmcnt(0)
	v_lshrrev_b32_e32 v93, 16, v31
	v_lshrrev_b32_e32 v96, 16, v32
	s_waitcnt vmcnt(0)
	s_barrier
	s_movk_i32 s16, 0xf9
	v_mul_f16_sdwa v99, v62, v7 dst_sel:DWORD dst_unused:UNUSED_PAD src0_sel:DWORD src1_sel:WORD_1
	v_fma_f16 v99, v21, v7, -v99
	v_mul_f16_sdwa v21, v21, v7 dst_sel:DWORD dst_unused:UNUSED_PAD src0_sel:DWORD src1_sel:WORD_1
	v_fma_f16 v21, v62, v7, v21
	v_mul_f16_sdwa v62, v83, v8 dst_sel:DWORD dst_unused:UNUSED_PAD src0_sel:DWORD src1_sel:WORD_1
	v_fma_f16 v62, v23, v8, -v62
	v_mul_f16_sdwa v23, v23, v8 dst_sel:DWORD dst_unused:UNUSED_PAD src0_sel:DWORD src1_sel:WORD_1
	v_fma_f16 v23, v83, v8, v23
	;; [unrolled: 4-line block ×11, first 2 shown]
	v_mul_f16_sdwa v97, v98, v18 dst_sel:DWORD dst_unused:UNUSED_PAD src0_sel:DWORD src1_sel:WORD_1
	v_fma_f16 v97, v41, v18, -v97
	v_mul_f16_sdwa v41, v41, v18 dst_sel:DWORD dst_unused:UNUSED_PAD src0_sel:DWORD src1_sel:WORD_1
	v_add_f16_e32 v100, v99, v62
	v_fma_f16 v41, v98, v18, v41
	v_add_f16_e32 v98, v19, v99
	v_fma_f16 v19, v100, -0.5, v19
	v_sub_f16_e32 v100, v21, v23
	v_fma_f16 v101, v100, s12, v19
	v_fma_f16 v19, v100, s13, v19
	v_add_f16_e32 v100, v60, v21
	v_add_f16_e32 v21, v21, v23
	v_add_f16_e32 v98, v98, v62
	v_add_f16_e32 v100, v100, v23
	v_fma_f16 v21, v21, -0.5, v60
	v_sub_f16_e32 v23, v99, v62
	v_add_f16_e32 v62, v83, v85
	v_fma_f16 v60, v23, s13, v21
	v_fma_f16 v21, v23, s12, v21
	v_add_f16_e32 v23, v20, v83
	v_fma_f16 v20, v62, -0.5, v20
	v_sub_f16_e32 v62, v22, v24
	v_fma_f16 v99, v62, s12, v20
	v_fma_f16 v20, v62, s13, v20
	v_add_f16_e32 v62, v84, v22
	v_add_f16_e32 v22, v22, v24
	;; [unrolled: 1-line block ×3, first 2 shown]
	v_fma_f16 v22, v22, -0.5, v84
	v_sub_f16_e32 v24, v83, v85
	v_add_f16_e32 v83, v86, v88
	v_add_f16_e32 v23, v23, v85
	v_fma_f16 v85, v24, s13, v22
	v_fma_f16 v22, v24, s12, v22
	v_add_f16_e32 v24, v25, v86
	v_fma_f16 v25, v83, -0.5, v25
	v_sub_f16_e32 v83, v27, v29
	v_fma_f16 v102, v83, s12, v25
	v_fma_f16 v25, v83, s13, v25
	v_add_f16_e32 v83, v87, v27
	v_add_f16_e32 v27, v27, v29
	v_add_f16_e32 v103, v83, v29
	v_fma_f16 v27, v27, -0.5, v87
	v_sub_f16_e32 v29, v86, v88
	v_add_f16_e32 v83, v89, v91
	v_fma_f16 v86, v29, s13, v27
	v_fma_f16 v27, v29, s12, v27
	v_add_f16_e32 v29, v26, v89
	v_fma_f16 v26, v83, -0.5, v26
	v_sub_f16_e32 v83, v28, v30
	v_fma_f16 v87, v83, s12, v26
	v_fma_f16 v26, v83, s13, v26
	v_add_f16_e32 v83, v90, v28
	v_add_f16_e32 v28, v28, v30
	v_add_f16_e32 v24, v24, v88
	v_add_f16_e32 v88, v83, v30
	v_fma_f16 v28, v28, -0.5, v90
	v_sub_f16_e32 v30, v89, v91
	v_add_f16_e32 v83, v92, v94
	v_fma_f16 v89, v30, s13, v28
	v_fma_f16 v28, v30, s12, v28
	v_add_f16_e32 v30, v31, v92
	v_fma_f16 v31, v83, -0.5, v31
	v_sub_f16_e32 v83, v33, v40
	v_fma_f16 v90, v83, s12, v31
	v_fma_f16 v31, v83, s13, v31
	v_add_f16_e32 v83, v93, v33
	;; [unrolled: 14-line block ×3, first 2 shown]
	v_add_f16_e32 v30, v30, v94
	v_add_f16_e32 v94, v83, v41
	v_add_lshl_u32 v83, v36, v38, 2
	v_pack_b32_f16 v19, v19, v21
	ds_write_b32 v83, v19 offset:88
	v_mul_u32_u24_e32 v19, 33, v42
	v_pack_b32_f16 v36, v98, v100
	v_pack_b32_f16 v38, v101, v60
	v_add_lshl_u32 v84, v19, v43, 2
	v_pack_b32_f16 v19, v23, v62
	v_pack_b32_f16 v21, v99, v85
	ds_write2_b32 v83, v36, v38 offset1:11
	ds_write2_b32 v84, v19, v21 offset1:11
	v_pack_b32_f16 v19, v20, v22
	ds_write_b32 v84, v19 offset:88
	v_mad_legacy_u16 v19, v44, 33, v46
	v_lshlrev_b32_e32 v85, 2, v19
	v_pack_b32_f16 v19, v24, v103
	v_pack_b32_f16 v20, v102, v86
	ds_write2_b32 v85, v19, v20 offset1:11
	v_pack_b32_f16 v19, v25, v27
	ds_write_b32 v85, v19 offset:88
	v_mad_legacy_u16 v19, v47, 33, v48
	v_lshlrev_b32_e32 v86, 2, v19
	v_pack_b32_f16 v19, v29, v88
	v_pack_b32_f16 v20, v87, v89
	ds_write2_b32 v86, v19, v20 offset1:11
	v_pack_b32_f16 v19, v26, v28
	ds_write_b32 v86, v19 offset:88
	v_mad_legacy_u16 v19, v49, 33, v50
	v_add_f16_e32 v34, v34, v41
	v_lshlrev_b32_e32 v87, 2, v19
	v_pack_b32_f16 v19, v30, v91
	v_pack_b32_f16 v20, v90, v92
	v_fma_f16 v34, v34, -0.5, v96
	v_sub_f16_e32 v41, v95, v97
	ds_write2_b32 v87, v19, v20 offset1:11
	v_pack_b32_f16 v19, v31, v33
	v_add_f16_e32 v40, v40, v97
	v_fma_f16 v95, v41, s13, v34
	ds_write_b32 v87, v19 offset:88
	v_mad_legacy_u16 v19, v51, 33, v52
	v_fma_f16 v34, v41, s12, v34
	v_lshlrev_b32_e32 v88, 2, v19
	v_pack_b32_f16 v19, v40, v94
	v_pack_b32_f16 v20, v93, v95
	ds_write2_b32 v88, v19, v20 offset1:11
	v_pack_b32_f16 v19, v32, v34
	ds_write_b32 v88, v19 offset:88
	v_mul_lo_u16_sdwa v19, v74, s16 dst_sel:DWORD dst_unused:UNUSED_PAD src0_sel:BYTE_0 src1_sel:DWORD
	v_lshrrev_b16_e32 v36, 13, v19
	v_mul_lo_u16_e32 v19, 33, v36
	v_sub_u16_e32 v19, v74, v19
	v_and_b32_e32 v38, 0xff, v19
	v_mul_lo_u16_sdwa v19, v5, s16 dst_sel:DWORD dst_unused:UNUSED_PAD src0_sel:BYTE_0 src1_sel:DWORD
	v_lshrrev_b16_e32 v44, 13, v19
	v_mul_lo_u16_e32 v19, 33, v44
	v_sub_u16_e32 v19, v5, v19
	v_lshlrev_b32_e32 v23, 3, v38
	v_and_b32_e32 v46, 0xff, v19
	s_mov_b32 s16, 0xf83f
	s_waitcnt lgkmcnt(0)
	s_barrier
	v_lshlrev_b32_e32 v24, 3, v46
	global_load_dwordx2 v[21:22], v23, s[4:5] offset:88
	global_load_dwordx2 v[19:20], v24, s[4:5] offset:88
	v_mul_u32_u24_sdwa v23, v45, s16 dst_sel:DWORD dst_unused:UNUSED_PAD src0_sel:WORD_0 src1_sel:DWORD
	v_lshrrev_b32_e32 v52, 21, v23
	v_mul_lo_u16_e32 v23, 33, v52
	v_sub_u16_e32 v60, v45, v23
	v_lshlrev_b16_e32 v23, 3, v60
	v_mul_u32_u24_sdwa v25, v35, s16 dst_sel:DWORD dst_unused:UNUSED_PAD src0_sel:WORD_0 src1_sel:DWORD
	v_mov_b32_e32 v47, s5
	v_add_co_u32_e32 v23, vcc, s4, v23
	v_lshrrev_b32_e32 v62, 21, v25
	v_addc_co_u32_e32 v24, vcc, 0, v47, vcc
	v_mul_lo_u16_e32 v25, 33, v62
	global_load_dwordx2 v[23:24], v[23:24], off offset:88
	v_sub_u16_e32 v95, v35, v25
	v_lshlrev_b16_e32 v25, 3, v95
	v_mul_u32_u24_sdwa v27, v37, s16 dst_sel:DWORD dst_unused:UNUSED_PAD src0_sel:WORD_0 src1_sel:DWORD
	v_add_co_u32_e32 v25, vcc, s4, v25
	v_lshrrev_b32_e32 v96, 21, v27
	v_addc_co_u32_e32 v26, vcc, 0, v47, vcc
	global_load_dwordx2 v[25:26], v[25:26], off offset:88
	v_mul_lo_u16_e32 v27, 33, v96
	v_sub_u16_e32 v97, v37, v27
	v_lshlrev_b16_e32 v27, 3, v97
	v_mul_u32_u24_sdwa v29, v39, s16 dst_sel:DWORD dst_unused:UNUSED_PAD src0_sel:WORD_0 src1_sel:DWORD
	v_add_co_u32_e32 v27, vcc, s4, v27
	v_lshrrev_b32_e32 v98, 21, v29
	v_addc_co_u32_e32 v28, vcc, 0, v47, vcc
	global_load_dwordx2 v[27:28], v[27:28], off offset:88
	v_mul_lo_u16_e32 v29, 33, v98
	v_sub_u16_e32 v99, v39, v29
	v_lshlrev_b16_e32 v29, 3, v99
	v_add_co_u32_e32 v29, vcc, s4, v29
	v_addc_co_u32_e32 v30, vcc, 0, v47, vcc
	global_load_dwordx2 v[29:30], v[29:30], off offset:88
	ds_read2_b32 v[31:32], v63 offset1:99
	ds_read2_b32 v[33:34], v53 offset0:82 offset1:181
	ds_read2_b32 v[40:41], v56 offset0:36 offset1:135
	;; [unrolled: 1-line block ×8, first 2 shown]
	s_waitcnt lgkmcnt(8)
	v_lshrrev_b32_e32 v100, 16, v31
	s_waitcnt lgkmcnt(7)
	v_lshrrev_b32_e32 v101, 16, v33
	;; [unrolled: 2-line block ×3, first 2 shown]
	v_lshrrev_b32_e32 v104, 16, v34
	v_lshrrev_b32_e32 v105, 16, v41
	s_waitcnt lgkmcnt(4)
	v_lshrrev_b32_e32 v107, 16, v48
	s_waitcnt lgkmcnt(3)
	v_lshrrev_b32_e32 v108, 16, v50
	v_lshrrev_b32_e32 v110, 16, v49
	;; [unrolled: 1-line block ×3, first 2 shown]
	s_waitcnt lgkmcnt(1)
	v_lshrrev_b32_e32 v113, 16, v91
	s_waitcnt lgkmcnt(0)
	v_lshrrev_b32_e32 v114, 16, v93
	v_lshrrev_b32_e32 v116, 16, v92
	;; [unrolled: 1-line block ×8, first 2 shown]
	v_mul_u32_u24_e32 v36, 0x63, v36
	s_waitcnt vmcnt(0)
	s_barrier
	v_lshlrev_b32_e32 v5, 3, v5
	v_mul_f16_sdwa v118, v101, v21 dst_sel:DWORD dst_unused:UNUSED_PAD src0_sel:DWORD src1_sel:WORD_1
	v_fma_f16 v118, v33, v21, -v118
	v_mul_f16_sdwa v33, v33, v21 dst_sel:DWORD dst_unused:UNUSED_PAD src0_sel:DWORD src1_sel:WORD_1
	v_fma_f16 v33, v101, v21, v33
	v_mul_f16_sdwa v101, v102, v22 dst_sel:DWORD dst_unused:UNUSED_PAD src0_sel:DWORD src1_sel:WORD_1
	v_fma_f16 v101, v40, v22, -v101
	v_mul_f16_sdwa v40, v40, v22 dst_sel:DWORD dst_unused:UNUSED_PAD src0_sel:DWORD src1_sel:WORD_1
	v_fma_f16 v40, v102, v22, v40
	;; [unrolled: 4-line block ×8, first 2 shown]
	v_add_f16_e32 v119, v118, v101
	v_mul_f16_sdwa v111, v113, v27 dst_sel:DWORD dst_unused:UNUSED_PAD src0_sel:DWORD src1_sel:WORD_1
	v_fma_f16 v111, v91, v27, -v111
	v_mul_f16_sdwa v91, v91, v27 dst_sel:DWORD dst_unused:UNUSED_PAD src0_sel:DWORD src1_sel:WORD_1
	v_fma_f16 v91, v113, v27, v91
	v_mul_f16_sdwa v113, v114, v28 dst_sel:DWORD dst_unused:UNUSED_PAD src0_sel:DWORD src1_sel:WORD_1
	v_fma_f16 v113, v93, v28, -v113
	v_mul_f16_sdwa v93, v93, v28 dst_sel:DWORD dst_unused:UNUSED_PAD src0_sel:DWORD src1_sel:WORD_1
	v_fma_f16 v93, v114, v28, v93
	;; [unrolled: 4-line block ×4, first 2 shown]
	v_add_f16_e32 v117, v31, v118
	v_fma_f16 v31, v119, -0.5, v31
	v_sub_f16_e32 v119, v33, v40
	v_fma_f16 v120, v119, s12, v31
	v_fma_f16 v31, v119, s13, v31
	v_add_f16_e32 v119, v100, v33
	v_add_f16_e32 v33, v33, v40
	;; [unrolled: 1-line block ×4, first 2 shown]
	v_fma_f16 v33, v33, -0.5, v100
	v_sub_f16_e32 v40, v118, v101
	v_add_f16_e32 v101, v102, v104
	v_fma_f16 v100, v40, s13, v33
	v_fma_f16 v33, v40, s12, v33
	v_add_f16_e32 v40, v32, v102
	v_fma_f16 v32, v101, -0.5, v32
	v_sub_f16_e32 v101, v34, v41
	v_fma_f16 v118, v101, s12, v32
	v_fma_f16 v32, v101, s13, v32
	v_add_f16_e32 v101, v103, v34
	v_add_f16_e32 v34, v34, v41
	v_add_f16_e32 v101, v101, v41
	v_fma_f16 v34, v34, -0.5, v103
	v_sub_f16_e32 v41, v102, v104
	v_add_f16_e32 v103, v105, v107
	v_fma_f16 v102, v41, s13, v34
	v_fma_f16 v34, v41, s12, v34
	v_add_f16_e32 v41, v42, v105
	v_fma_f16 v42, v103, -0.5, v42
	v_sub_f16_e32 v103, v48, v50
	v_add_f16_e32 v40, v40, v104
	v_fma_f16 v104, v103, s12, v42
	v_fma_f16 v42, v103, s13, v42
	v_add_f16_e32 v103, v106, v48
	v_add_f16_e32 v48, v48, v50
	v_add_f16_e32 v103, v103, v50
	v_fma_f16 v48, v48, -0.5, v106
	v_sub_f16_e32 v50, v105, v107
	v_add_f16_e32 v106, v108, v110
	v_fma_f16 v105, v50, s13, v48
	v_fma_f16 v48, v50, s12, v48
	v_add_f16_e32 v50, v43, v108
	v_fma_f16 v43, v106, -0.5, v43
	v_sub_f16_e32 v106, v49, v51
	v_add_f16_e32 v41, v41, v107
	;; [unrolled: 14-line block ×3, first 2 shown]
	v_fma_f16 v110, v109, s12, v89
	v_fma_f16 v109, v109, s13, v89
	v_add_f16_e32 v89, v112, v91
	v_add_f16_e32 v121, v89, v93
	;; [unrolled: 1-line block ×3, first 2 shown]
	v_fma_f16 v89, v89, -0.5, v112
	v_sub_f16_e32 v91, v111, v113
	v_fma_f16 v111, v91, s13, v89
	v_fma_f16 v112, v91, s12, v89
	v_add_f16_e32 v89, v90, v114
	v_add_f16_e32 v51, v51, v113
	;; [unrolled: 1-line block ×4, first 2 shown]
	v_fma_f16 v89, v89, -0.5, v90
	v_sub_f16_e32 v90, v92, v94
	v_fma_f16 v122, v90, s12, v89
	v_fma_f16 v123, v90, s13, v89
	v_add_f16_e32 v89, v115, v92
	v_add_f16_e32 v124, v89, v94
	;; [unrolled: 1-line block ×3, first 2 shown]
	v_fma_f16 v89, v89, -0.5, v115
	v_sub_f16_e32 v90, v114, v116
	v_fma_f16 v114, v90, s13, v89
	v_fma_f16 v115, v90, s12, v89
	v_add_lshl_u32 v89, v36, v38, 2
	v_pack_b32_f16 v31, v31, v33
	ds_write_b32 v89, v31 offset:264
	v_mul_u32_u24_e32 v31, 0x63, v44
	v_pack_b32_f16 v36, v117, v119
	v_pack_b32_f16 v38, v120, v100
	v_add_lshl_u32 v90, v31, v46, 2
	v_pack_b32_f16 v31, v40, v101
	v_pack_b32_f16 v33, v118, v102
	ds_write2_b32 v89, v36, v38 offset1:33
	ds_write2_b32 v90, v31, v33 offset1:33
	v_pack_b32_f16 v31, v32, v34
	ds_write_b32 v90, v31 offset:264
	v_mad_legacy_u16 v31, v52, s14, v60
	v_lshlrev_b32_e32 v91, 2, v31
	v_pack_b32_f16 v31, v41, v103
	v_pack_b32_f16 v32, v104, v105
	ds_write2_b32 v91, v31, v32 offset1:33
	v_pack_b32_f16 v31, v42, v48
	ds_write_b32 v91, v31 offset:264
	v_mad_legacy_u16 v31, v62, s14, v95
	v_lshlrev_b32_e32 v92, 2, v31
	v_pack_b32_f16 v31, v50, v106
	v_pack_b32_f16 v32, v107, v108
	;; [unrolled: 7-line block ×4, first 2 shown]
	ds_write2_b32 v94, v31, v32 offset1:33
	v_pack_b32_f16 v31, v123, v115
	v_lshlrev_b32_e32 v46, 3, v74
	ds_write_b32 v94, v31 offset:264
	s_waitcnt lgkmcnt(0)
	s_barrier
	global_load_dwordx2 v[31:32], v46, s[4:5] offset:352
	s_mov_b32 s14, 0xa57f
	v_mul_u32_u24_sdwa v33, v45, s14 dst_sel:DWORD dst_unused:UNUSED_PAD src0_sel:WORD_0 src1_sel:DWORD
	v_lshrrev_b32_e32 v33, 22, v33
	v_mul_lo_u16_e32 v33, 0x63, v33
	v_sub_u16_e32 v52, v45, v33
	v_lshlrev_b16_e32 v33, 3, v52
	v_mul_u32_u24_sdwa v36, v35, s14 dst_sel:DWORD dst_unused:UNUSED_PAD src0_sel:WORD_0 src1_sel:DWORD
	v_add_co_u32_e32 v33, vcc, s4, v33
	v_lshrrev_b32_e32 v36, 22, v36
	v_addc_co_u32_e32 v34, vcc, 0, v47, vcc
	global_load_dwordx2 v[33:34], v[33:34], off offset:352
	v_mul_lo_u16_e32 v36, 0x63, v36
	v_sub_u16_e32 v60, v35, v36
	v_lshlrev_b16_e32 v35, 3, v60
	v_mul_u32_u24_sdwa v38, v37, s14 dst_sel:DWORD dst_unused:UNUSED_PAD src0_sel:WORD_0 src1_sel:DWORD
	v_add_co_u32_e32 v35, vcc, s4, v35
	v_lshrrev_b32_e32 v38, 22, v38
	v_addc_co_u32_e32 v36, vcc, 0, v47, vcc
	global_load_dwordx2 v[35:36], v[35:36], off offset:352
	;; [unrolled: 8-line block ×3, first 2 shown]
	v_mul_lo_u16_e32 v40, 0x63, v40
	v_sub_u16_e32 v105, v39, v40
	v_lshlrev_b16_e32 v39, 3, v105
	v_add_co_u32_e32 v39, vcc, s4, v39
	v_addc_co_u32_e32 v40, vcc, 0, v47, vcc
	global_load_dwordx2 v[39:40], v[39:40], off offset:352
	ds_read2_b32 v[41:42], v63 offset1:99
	ds_read2_b32 v[43:44], v53 offset0:82 offset1:181
	ds_read2_b32 v[48:49], v56 offset0:36 offset1:135
	;; [unrolled: 1-line block ×8, first 2 shown]
	s_waitcnt lgkmcnt(8)
	v_lshrrev_b32_e32 v106, 16, v41
	s_waitcnt lgkmcnt(7)
	v_lshrrev_b32_e32 v107, 16, v43
	;; [unrolled: 2-line block ×3, first 2 shown]
	v_lshrrev_b32_e32 v110, 16, v44
	v_lshrrev_b32_e32 v111, 16, v49
	s_waitcnt lgkmcnt(4)
	v_lshrrev_b32_e32 v113, 16, v95
	s_waitcnt lgkmcnt(3)
	v_lshrrev_b32_e32 v114, 16, v97
	v_lshrrev_b32_e32 v116, 16, v96
	;; [unrolled: 1-line block ×3, first 2 shown]
	s_waitcnt lgkmcnt(1)
	v_lshrrev_b32_e32 v119, 16, v101
	s_waitcnt lgkmcnt(0)
	v_lshrrev_b32_e32 v120, 16, v103
	v_lshrrev_b32_e32 v122, 16, v102
	;; [unrolled: 1-line block ×8, first 2 shown]
	s_waitcnt vmcnt(0)
	s_barrier
	v_mul_f16_sdwa v124, v107, v31 dst_sel:DWORD dst_unused:UNUSED_PAD src0_sel:DWORD src1_sel:WORD_1
	v_fma_f16 v124, v43, v31, -v124
	v_mul_f16_sdwa v43, v43, v31 dst_sel:DWORD dst_unused:UNUSED_PAD src0_sel:DWORD src1_sel:WORD_1
	v_fma_f16 v43, v107, v31, v43
	v_mul_f16_sdwa v107, v108, v32 dst_sel:DWORD dst_unused:UNUSED_PAD src0_sel:DWORD src1_sel:WORD_1
	v_fma_f16 v107, v48, v32, -v107
	v_mul_f16_sdwa v48, v48, v32 dst_sel:DWORD dst_unused:UNUSED_PAD src0_sel:DWORD src1_sel:WORD_1
	v_fma_f16 v48, v108, v32, v48
	;; [unrolled: 4-line block ×8, first 2 shown]
	v_add_f16_e32 v125, v124, v107
	v_mul_f16_sdwa v117, v119, v37 dst_sel:DWORD dst_unused:UNUSED_PAD src0_sel:DWORD src1_sel:WORD_1
	v_fma_f16 v117, v101, v37, -v117
	v_mul_f16_sdwa v101, v101, v37 dst_sel:DWORD dst_unused:UNUSED_PAD src0_sel:DWORD src1_sel:WORD_1
	v_fma_f16 v101, v119, v37, v101
	v_mul_f16_sdwa v119, v120, v38 dst_sel:DWORD dst_unused:UNUSED_PAD src0_sel:DWORD src1_sel:WORD_1
	v_fma_f16 v119, v103, v38, -v119
	v_mul_f16_sdwa v103, v103, v38 dst_sel:DWORD dst_unused:UNUSED_PAD src0_sel:DWORD src1_sel:WORD_1
	v_fma_f16 v103, v120, v38, v103
	;; [unrolled: 4-line block ×4, first 2 shown]
	v_add_f16_e32 v123, v41, v124
	v_fma_f16 v41, v125, -0.5, v41
	v_sub_f16_e32 v125, v43, v48
	v_fma_f16 v126, v125, s12, v41
	v_fma_f16 v41, v125, s13, v41
	v_add_f16_e32 v125, v106, v43
	v_add_f16_e32 v43, v43, v48
	;; [unrolled: 1-line block ×4, first 2 shown]
	v_fma_f16 v43, v43, -0.5, v106
	v_sub_f16_e32 v48, v124, v107
	v_add_f16_e32 v107, v108, v110
	v_fma_f16 v106, v48, s13, v43
	v_fma_f16 v43, v48, s12, v43
	v_add_f16_e32 v48, v42, v108
	v_fma_f16 v42, v107, -0.5, v42
	v_sub_f16_e32 v107, v44, v49
	v_fma_f16 v124, v107, s12, v42
	v_fma_f16 v42, v107, s13, v42
	v_add_f16_e32 v107, v109, v44
	v_add_f16_e32 v44, v44, v49
	v_add_f16_e32 v107, v107, v49
	v_fma_f16 v44, v44, -0.5, v109
	v_sub_f16_e32 v49, v108, v110
	v_add_f16_e32 v109, v111, v113
	v_fma_f16 v108, v49, s13, v44
	v_fma_f16 v44, v49, s12, v44
	v_add_f16_e32 v49, v50, v111
	v_fma_f16 v50, v109, -0.5, v50
	v_sub_f16_e32 v109, v95, v97
	v_add_f16_e32 v48, v48, v110
	v_fma_f16 v110, v109, s12, v50
	v_fma_f16 v50, v109, s13, v50
	v_add_f16_e32 v109, v112, v95
	v_add_f16_e32 v95, v95, v97
	;; [unrolled: 1-line block ×3, first 2 shown]
	v_fma_f16 v95, v95, -0.5, v112
	v_sub_f16_e32 v97, v111, v113
	v_fma_f16 v111, v97, s13, v95
	v_fma_f16 v97, v97, s12, v95
	v_add_f16_e32 v95, v51, v114
	v_add_f16_e32 v112, v95, v116
	;; [unrolled: 1-line block ×3, first 2 shown]
	v_fma_f16 v51, v95, -0.5, v51
	v_sub_f16_e32 v95, v96, v98
	v_add_f16_e32 v49, v49, v113
	v_fma_f16 v113, v95, s12, v51
	v_fma_f16 v51, v95, s13, v51
	v_add_f16_e32 v95, v115, v96
	v_add_f16_e32 v127, v95, v98
	v_add_f16_e32 v95, v96, v98
	v_fma_f16 v95, v95, -0.5, v115
	v_sub_f16_e32 v96, v114, v116
	v_fma_f16 v98, v96, s13, v95
	v_fma_f16 v114, v96, s12, v95
	v_add_f16_e32 v95, v99, v117
	v_add_f16_e32 v115, v95, v119
	v_add_f16_e32 v95, v117, v119
	v_fma_f16 v95, v95, -0.5, v99
	v_sub_f16_e32 v96, v101, v103
	;; [unrolled: 7-line block ×5, first 2 shown]
	v_fma_f16 v102, v96, s13, v95
	v_fma_f16 v104, v96, s12, v95
	v_pack_b32_f16 v95, v123, v125
	v_pack_b32_f16 v96, v126, v106
	;; [unrolled: 1-line block ×4, first 2 shown]
	ds_write2_b32 v63, v95, v96 offset1:99
	ds_write2_b32 v59, v41, v43 offset0:70 offset1:169
	v_pack_b32_f16 v41, v124, v108
	v_pack_b32_f16 v42, v42, v44
	v_lshlrev_b32_e32 v95, 2, v52
	ds_write2_b32 v55, v41, v42 offset0:140 offset1:239
	v_pack_b32_f16 v41, v49, v109
	v_pack_b32_f16 v42, v110, v111
	v_add_u32_e32 v43, 0x800, v95
	ds_write2_b32 v43, v41, v42 offset0:82 offset1:181
	v_pack_b32_f16 v41, v50, v97
	v_lshlrev_b32_e32 v96, 2, v60
	ds_write_b32 v95, v41 offset:3168
	v_pack_b32_f16 v41, v112, v127
	v_pack_b32_f16 v42, v113, v98
	v_add_u32_e32 v43, 0xc00, v96
	ds_write2_b32 v43, v41, v42 offset0:123 offset1:222
	v_pack_b32_f16 v41, v51, v114
	v_lshlrev_b32_e32 v97, 2, v62
	ds_write_b32 v96, v41 offset:4356
	;; [unrolled: 7-line block ×3, first 2 shown]
	v_pack_b32_f16 v41, v117, v119
	v_pack_b32_f16 v42, v100, v102
	v_add_u32_e32 v43, 0x1600, v98
	ds_write2_b32 v43, v41, v42 offset0:77 offset1:176
	v_pack_b32_f16 v41, v118, v104
	ds_write_b32 v98, v41 offset:6732
	s_waitcnt lgkmcnt(0)
	s_barrier
	global_load_dwordx2 v[41:42], v46, s[4:5] offset:1144
	global_load_dwordx2 v[43:44], v5, s[4:5] offset:1144
	v_lshlrev_b32_e32 v5, 3, v45
	global_load_dwordx2 v[45:46], v5, s[4:5] offset:1144
	ds_read2_b32 v[48:49], v63 offset1:99
	ds_read2_b32 v[50:51], v53 offset0:82 offset1:181
	ds_read2_b32 v[99:100], v56 offset0:36 offset1:135
	;; [unrolled: 1-line block ×8, first 2 shown]
	s_waitcnt lgkmcnt(8)
	v_lshrrev_b32_e32 v5, 16, v48
	s_waitcnt lgkmcnt(7)
	v_lshrrev_b32_e32 v52, 16, v50
	;; [unrolled: 2-line block ×3, first 2 shown]
	v_lshrrev_b32_e32 v113, 16, v51
	v_lshrrev_b32_e32 v114, 16, v100
	s_waitcnt lgkmcnt(4)
	v_lshrrev_b32_e32 v116, 16, v103
	s_waitcnt lgkmcnt(3)
	v_lshrrev_b32_e32 v117, 16, v105
	v_lshrrev_b32_e32 v119, 16, v104
	v_lshrrev_b32_e32 v120, 16, v106
	s_waitcnt lgkmcnt(1)
	v_lshrrev_b32_e32 v122, 16, v109
	s_waitcnt lgkmcnt(0)
	v_lshrrev_b32_e32 v123, 16, v111
	v_lshrrev_b32_e32 v125, 16, v110
	;; [unrolled: 1-line block ×8, first 2 shown]
	s_waitcnt vmcnt(0)
	s_barrier
	v_mul_f16_sdwa v127, v52, v41 dst_sel:DWORD dst_unused:UNUSED_PAD src0_sel:DWORD src1_sel:WORD_1
	v_fma_f16 v127, v50, v41, -v127
	v_mul_f16_sdwa v50, v50, v41 dst_sel:DWORD dst_unused:UNUSED_PAD src0_sel:DWORD src1_sel:WORD_1
	v_fma_f16 v50, v52, v41, v50
	v_mul_f16_sdwa v52, v60, v42 dst_sel:DWORD dst_unused:UNUSED_PAD src0_sel:DWORD src1_sel:WORD_1
	v_fma_f16 v52, v99, v42, -v52
	v_mul_f16_sdwa v99, v99, v42 dst_sel:DWORD dst_unused:UNUSED_PAD src0_sel:DWORD src1_sel:WORD_1
	v_fma_f16 v60, v60, v42, v99
	;; [unrolled: 4-line block ×11, first 2 shown]
	v_mul_f16_sdwa v125, v126, v46 dst_sel:DWORD dst_unused:UNUSED_PAD src0_sel:DWORD src1_sel:WORD_1
	v_fma_f16 v125, v112, v46, -v125
	v_mul_f16_sdwa v112, v112, v46 dst_sel:DWORD dst_unused:UNUSED_PAD src0_sel:DWORD src1_sel:WORD_1
	v_add_f16_e32 v128, v127, v52
	v_fma_f16 v112, v126, v46, v112
	v_add_f16_e32 v126, v48, v127
	v_fma_f16 v48, v128, -0.5, v48
	v_sub_f16_e32 v128, v50, v60
	v_fma_f16 v129, v128, s12, v48
	v_fma_f16 v48, v128, s13, v48
	v_add_f16_e32 v128, v5, v50
	v_add_f16_e32 v50, v50, v60
	;; [unrolled: 1-line block ×3, first 2 shown]
	v_fma_f16 v5, v50, -0.5, v5
	v_sub_f16_e32 v50, v127, v52
	v_add_f16_e32 v60, v99, v113
	v_add_f16_e32 v126, v126, v52
	v_fma_f16 v52, v50, s13, v5
	v_fma_f16 v5, v50, s12, v5
	v_add_f16_e32 v50, v49, v99
	v_fma_f16 v49, v60, -0.5, v49
	v_sub_f16_e32 v60, v51, v100
	v_fma_f16 v127, v60, s12, v49
	v_fma_f16 v49, v60, s13, v49
	v_add_f16_e32 v60, v62, v51
	v_add_f16_e32 v51, v51, v100
	v_add_f16_e32 v60, v60, v100
	v_fma_f16 v51, v51, -0.5, v62
	v_sub_f16_e32 v62, v99, v113
	v_add_f16_e32 v100, v114, v116
	v_fma_f16 v99, v62, s13, v51
	v_fma_f16 v51, v62, s12, v51
	v_add_f16_e32 v62, v101, v114
	v_fma_f16 v100, v100, -0.5, v101
	v_sub_f16_e32 v101, v103, v105
	v_add_f16_e32 v50, v50, v113
	v_fma_f16 v113, v101, s12, v100
	v_fma_f16 v100, v101, s13, v100
	v_add_f16_e32 v101, v115, v103
	v_add_f16_e32 v103, v103, v105
	v_add_f16_e32 v101, v101, v105
	v_fma_f16 v103, v103, -0.5, v115
	v_sub_f16_e32 v105, v114, v116
	v_add_f16_e32 v115, v117, v119
	v_fma_f16 v114, v105, s13, v103
	v_fma_f16 v103, v105, s12, v103
	v_add_f16_e32 v105, v102, v117
	v_fma_f16 v102, v115, -0.5, v102
	v_sub_f16_e32 v115, v104, v106
	v_add_f16_e32 v62, v62, v116
	;; [unrolled: 14-line block ×4, first 2 shown]
	v_fma_f16 v122, v121, s12, v108
	v_fma_f16 v108, v121, s13, v108
	v_add_f16_e32 v121, v124, v110
	v_add_f16_e32 v110, v110, v112
	;; [unrolled: 1-line block ×3, first 2 shown]
	v_fma_f16 v110, v110, -0.5, v124
	v_sub_f16_e32 v112, v123, v125
	v_pack_b32_f16 v5, v48, v5
	v_pack_b32_f16 v49, v49, v51
	v_fma_f16 v123, v112, s13, v110
	v_fma_f16 v110, v112, s12, v110
	v_pack_b32_f16 v112, v126, v128
	v_pack_b32_f16 v52, v129, v52
	;; [unrolled: 1-line block ×3, first 2 shown]
	ds_write2_b32 v53, v5, v49 offset0:82 offset1:181
	v_pack_b32_f16 v5, v62, v101
	ds_write2_b32 v63, v112, v48 offset1:99
	v_pack_b32_f16 v48, v127, v99
	ds_write2_b32 v59, v5, v52 offset0:70 offset1:169
	v_pack_b32_f16 v5, v113, v114
	ds_write2_b32 v55, v48, v5 offset0:140 offset1:239
	v_pack_b32_f16 v5, v100, v103
	v_pack_b32_f16 v48, v105, v115
	v_add_f16_e32 v111, v111, v125
	ds_write2_b32 v54, v5, v48 offset0:24 offset1:123
	v_pack_b32_f16 v5, v116, v117
	v_pack_b32_f16 v50, v119, v120
	;; [unrolled: 1-line block ×3, first 2 shown]
	ds_write2_b32 v56, v5, v50 offset0:36 offset1:135
	v_pack_b32_f16 v50, v111, v121
	v_pack_b32_f16 v48, v102, v104
	ds_write2_b32 v57, v49, v50 offset0:94 offset1:193
	v_pack_b32_f16 v49, v122, v123
	v_pack_b32_f16 v5, v107, v109
	ds_write2_b32 v61, v49, v48 offset0:106 offset1:205
	v_pack_b32_f16 v48, v108, v110
	ds_write2_b32 v58, v5, v48 offset0:48 offset1:147
	s_waitcnt lgkmcnt(0)
	s_barrier
	global_load_dword v99, v63, s[4:5] offset:3520
	global_load_dword v100, v63, s[4:5] offset:3916
	v_add_co_u32_e32 v5, vcc, s4, v63
	v_addc_co_u32_e32 v48, vcc, 0, v47, vcc
	s_movk_i32 s4, 0x1000
	v_add_co_u32_e32 v47, vcc, s4, v5
	v_addc_co_u32_e32 v48, vcc, 0, v48, vcc
	global_load_dword v101, v[47:48], off offset:216
	global_load_dword v102, v[47:48], off offset:612
	;; [unrolled: 1-line block ×7, first 2 shown]
	ds_read2_b32 v[47:48], v63 offset1:99
	ds_read2_b32 v[113:114], v54 offset0:24 offset1:123
	ds_read2_b32 v[49:50], v57 offset0:94 offset1:193
	;; [unrolled: 1-line block ×7, first 2 shown]
	s_waitcnt lgkmcnt(6)
	v_lshrrev_b32_e32 v5, 16, v114
	s_waitcnt lgkmcnt(5)
	v_lshrrev_b32_e32 v112, 16, v49
	v_lshrrev_b32_e32 v122, 16, v50
	s_waitcnt lgkmcnt(3)
	v_lshrrev_b32_e32 v124, 16, v108
	v_lshrrev_b32_e32 v126, 16, v109
	ds_read2_b32 v[119:120], v58 offset0:48 offset1:147
	s_waitcnt lgkmcnt(2)
	v_lshrrev_b32_e32 v128, 16, v115
	v_lshrrev_b32_e32 v130, 16, v116
	;; [unrolled: 1-line block ×4, first 2 shown]
	s_waitcnt lgkmcnt(0)
	v_lshrrev_b32_e32 v132, 16, v119
	v_lshrrev_b32_e32 v133, 16, v120
	;; [unrolled: 1-line block ×8, first 2 shown]
	s_waitcnt vmcnt(8)
	v_mul_f16_sdwa v134, v5, v99 dst_sel:DWORD dst_unused:UNUSED_PAD src0_sel:DWORD src1_sel:WORD_1
	v_fma_f16 v134, v114, v99, -v134
	v_mul_f16_sdwa v114, v114, v99 dst_sel:DWORD dst_unused:UNUSED_PAD src0_sel:DWORD src1_sel:WORD_1
	v_fma_f16 v114, v5, v99, v114
	s_waitcnt vmcnt(7)
	v_mul_f16_sdwa v5, v112, v100 dst_sel:DWORD dst_unused:UNUSED_PAD src0_sel:DWORD src1_sel:WORD_1
	v_fma_f16 v5, v49, v100, -v5
	v_mul_f16_sdwa v49, v49, v100 dst_sel:DWORD dst_unused:UNUSED_PAD src0_sel:DWORD src1_sel:WORD_1
	v_fma_f16 v112, v112, v100, v49
	;; [unrolled: 5-line block ×9, first 2 shown]
	v_sub_f16_e32 v133, v47, v134
	v_sub_f16_e32 v135, v48, v5
	;; [unrolled: 1-line block ×3, first 2 shown]
	v_mov_b32_e32 v5, s15
	v_fma_f16 v134, v47, 2.0, -v133
	v_fma_f16 v138, v51, 2.0, -v137
	v_sub_f16_e32 v51, v118, v130
	v_sub_f16_e32 v47, v111, v126
	v_addc_co_u32_e64 v126, vcc, 0, v5, s[2:3]
	v_sub_f16_e32 v5, v113, v132
	v_sub_f16_e32 v130, v60, v114
	v_sub_f16_e32 v132, v62, v112
	v_fma_f16 v136, v48, 2.0, -v135
	v_fma_f16 v60, v60, 2.0, -v130
	;; [unrolled: 1-line block ×3, first 2 shown]
	v_sub_f16_e32 v139, v52, v50
	v_sub_f16_e32 v122, v121, v122
	v_sub_f16_e32 v141, v123, v108
	v_pack_b32_f16 v60, v134, v60
	v_pack_b32_f16 v62, v136, v62
	v_fma_f16 v140, v52, 2.0, -v139
	v_fma_f16 v50, v118, 2.0, -v51
	;; [unrolled: 1-line block ×5, first 2 shown]
	v_sub_f16_e32 v111, v131, v119
	ds_write2_b32 v63, v60, v62 offset1:99
	v_pack_b32_f16 v60, v135, v132
	v_pack_b32_f16 v119, v137, v122
	v_sub_f16_e32 v124, v110, v124
	v_sub_f16_e32 v49, v117, v128
	;; [unrolled: 1-line block ×4, first 2 shown]
	v_pack_b32_f16 v62, v138, v121
	ds_write2_b32 v57, v60, v119 offset0:94 offset1:193
	v_pack_b32_f16 v60, v140, v123
	v_fma_f16 v48, v117, 2.0, -v49
	v_fma_f16 v117, v110, 2.0, -v124
	;; [unrolled: 1-line block ×4, first 2 shown]
	ds_write2_b32 v59, v62, v60 offset0:70 offset1:169
	v_pack_b32_f16 v59, v139, v141
	v_pack_b32_f16 v62, v124, v142
	v_lshrrev_b32_e32 v128, 16, v113
	v_sub_f16_e32 v109, v129, v116
	v_pack_b32_f16 v60, v117, v125
	ds_write2_b32 v56, v59, v62 offset0:36 offset1:135
	v_pack_b32_f16 v56, v118, v115
	v_fma_f16 v110, v129, 2.0, -v109
	v_fma_f16 v112, v131, 2.0, -v111
	v_sub_f16_e32 v114, v128, v120
	ds_write2_b32 v55, v60, v56 offset0:140 offset1:239
	v_pack_b32_f16 v56, v47, v108
	v_pack_b32_f16 v60, v49, v109
	v_fma_f16 v52, v113, 2.0, -v5
	v_fma_f16 v113, v128, 2.0, -v114
	v_pack_b32_f16 v59, v48, v110
	ds_write2_b32 v61, v56, v60 offset0:106 offset1:205
	v_pack_b32_f16 v56, v50, v112
	v_pack_b32_f16 v116, v133, v130
	ds_write2_b32 v53, v59, v56 offset0:82 offset1:181
	v_pack_b32_f16 v56, v52, v113
	;; [unrolled: 3-line block ×3, first 2 shown]
	ds_write2_b32 v58, v53, v54 offset0:48 offset1:147
	v_add_co_u32_e32 v53, vcc, s4, v0
	v_addc_co_u32_e32 v54, vcc, 0, v126, vcc
	s_waitcnt lgkmcnt(0)
	s_barrier
	global_load_dword v56, v[53:54], off offset:3032
	s_movk_i32 s2, 0x1bd8
	v_add_co_u32_e32 v53, vcc, s2, v0
	v_addc_co_u32_e32 v54, vcc, 0, v126, vcc
	global_load_dword v60, v[53:54], off offset:648
	global_load_dword v62, v[53:54], off offset:1296
	global_load_dword v117, v[53:54], off offset:1944
	global_load_dword v118, v[53:54], off offset:2592
	global_load_dword v119, v[53:54], off offset:3240
	s_movk_i32 s2, 0x2000
	v_add_co_u32_e32 v58, vcc, s2, v0
	v_addc_co_u32_e32 v59, vcc, 0, v126, vcc
	global_load_dword v120, v[58:59], off offset:3472
	global_load_dword v121, v[53:54], off offset:3888
	s_movk_i32 s2, 0x3000
	v_add_co_u32_e32 v58, vcc, s2, v0
	v_addc_co_u32_e32 v59, vcc, 0, v126, vcc
	global_load_dword v122, v[58:59], off offset:24
	global_load_dword v123, v[58:59], off offset:672
	;; [unrolled: 1-line block ×3, first 2 shown]
	ds_read2_b32 v[115:116], v63 offset1:162
	s_waitcnt lgkmcnt(0)
	v_lshrrev_b32_e32 v58, 16, v115
	s_waitcnt vmcnt(10)
	v_mul_f16_sdwa v59, v58, v56 dst_sel:DWORD dst_unused:UNUSED_PAD src0_sel:DWORD src1_sel:WORD_1
	v_fma_f16 v59, v115, v56, -v59
	v_mul_f16_sdwa v115, v115, v56 dst_sel:DWORD dst_unused:UNUSED_PAD src0_sel:DWORD src1_sel:WORD_1
	v_fma_f16 v56, v58, v56, v115
	v_lshrrev_b32_e32 v58, 16, v116
	v_pack_b32_f16 v56, v59, v56
	s_waitcnt vmcnt(9)
	v_mul_f16_sdwa v59, v58, v60 dst_sel:DWORD dst_unused:UNUSED_PAD src0_sel:DWORD src1_sel:WORD_1
	v_mul_f16_sdwa v115, v116, v60 dst_sel:DWORD dst_unused:UNUSED_PAD src0_sel:DWORD src1_sel:WORD_1
	v_fma_f16 v59, v116, v60, -v59
	v_fma_f16 v58, v58, v60, v115
	v_pack_b32_f16 v58, v59, v58
	ds_write2_b32 v63, v56, v58 offset1:162
	ds_read2_b32 v[58:59], v55 offset0:68 offset1:230
	s_waitcnt lgkmcnt(0)
	v_lshrrev_b32_e32 v56, 16, v58
	s_waitcnt vmcnt(8)
	v_mul_f16_sdwa v60, v56, v62 dst_sel:DWORD dst_unused:UNUSED_PAD src0_sel:DWORD src1_sel:WORD_1
	v_fma_f16 v60, v58, v62, -v60
	v_mul_f16_sdwa v58, v58, v62 dst_sel:DWORD dst_unused:UNUSED_PAD src0_sel:DWORD src1_sel:WORD_1
	v_fma_f16 v56, v56, v62, v58
	v_pack_b32_f16 v58, v60, v56
	v_lshrrev_b32_e32 v60, 16, v59
	s_waitcnt vmcnt(7)
	v_mul_f16_sdwa v56, v60, v117 dst_sel:DWORD dst_unused:UNUSED_PAD src0_sel:DWORD src1_sel:WORD_1
	v_fma_f16 v62, v59, v117, -v56
	v_add_u32_e32 v56, 0xa00, v63
	ds_read2_b32 v[115:116], v56 offset0:8 offset1:170
	v_mul_f16_sdwa v59, v59, v117 dst_sel:DWORD dst_unused:UNUSED_PAD src0_sel:DWORD src1_sel:WORD_1
	v_fma_f16 v59, v60, v117, v59
	v_pack_b32_f16 v59, v62, v59
	ds_write2_b32 v55, v58, v59 offset0:68 offset1:230
	s_waitcnt lgkmcnt(1)
	v_lshrrev_b32_e32 v58, 16, v115
	s_waitcnt vmcnt(6)
	v_mul_f16_sdwa v59, v58, v118 dst_sel:DWORD dst_unused:UNUSED_PAD src0_sel:DWORD src1_sel:WORD_1
	v_mul_f16_sdwa v60, v115, v118 dst_sel:DWORD dst_unused:UNUSED_PAD src0_sel:DWORD src1_sel:WORD_1
	v_fma_f16 v59, v115, v118, -v59
	v_fma_f16 v58, v58, v118, v60
	v_lshrrev_b32_e32 v62, 16, v116
	v_pack_b32_f16 v60, v59, v58
	s_waitcnt vmcnt(5)
	v_mul_f16_sdwa v58, v62, v119 dst_sel:DWORD dst_unused:UNUSED_PAD src0_sel:DWORD src1_sel:WORD_1
	v_fma_f16 v115, v116, v119, -v58
	ds_read2_b32 v[58:59], v57 offset0:76 offset1:238
	v_mul_f16_sdwa v116, v116, v119 dst_sel:DWORD dst_unused:UNUSED_PAD src0_sel:DWORD src1_sel:WORD_1
	v_fma_f16 v62, v62, v119, v116
	v_pack_b32_f16 v62, v115, v62
	ds_write2_b32 v56, v60, v62 offset0:8 offset1:170
	s_waitcnt lgkmcnt(1)
	v_lshrrev_b32_e32 v60, 16, v58
	s_waitcnt vmcnt(3)
	v_mul_f16_sdwa v62, v60, v121 dst_sel:DWORD dst_unused:UNUSED_PAD src0_sel:DWORD src1_sel:WORD_1
	v_fma_f16 v62, v58, v121, -v62
	v_mul_f16_sdwa v58, v58, v121 dst_sel:DWORD dst_unused:UNUSED_PAD src0_sel:DWORD src1_sel:WORD_1
	v_fma_f16 v58, v60, v121, v58
	v_lshrrev_b32_e32 v60, 16, v59
	ds_read2_b32 v[115:116], v61 offset0:16 offset1:178
	v_pack_b32_f16 v58, v62, v58
	v_mul_f16_sdwa v62, v60, v120 dst_sel:DWORD dst_unused:UNUSED_PAD src0_sel:DWORD src1_sel:WORD_1
	v_fma_f16 v62, v59, v120, -v62
	v_mul_f16_sdwa v59, v59, v120 dst_sel:DWORD dst_unused:UNUSED_PAD src0_sel:DWORD src1_sel:WORD_1
	v_fma_f16 v59, v60, v120, v59
	v_pack_b32_f16 v59, v62, v59
	ds_write2_b32 v57, v58, v59 offset0:76 offset1:238
	s_waitcnt lgkmcnt(1)
	v_lshrrev_b32_e32 v58, 16, v115
	s_waitcnt vmcnt(2)
	v_mul_f16_sdwa v59, v58, v122 dst_sel:DWORD dst_unused:UNUSED_PAD src0_sel:DWORD src1_sel:WORD_1
	v_mul_f16_sdwa v60, v115, v122 dst_sel:DWORD dst_unused:UNUSED_PAD src0_sel:DWORD src1_sel:WORD_1
	v_fma_f16 v59, v115, v122, -v59
	v_fma_f16 v58, v58, v122, v60
	ds_read_b32 v62, v63 offset:6480
	v_pack_b32_f16 v58, v59, v58
	v_lshrrev_b32_e32 v59, 16, v116
	s_waitcnt vmcnt(1)
	v_mul_f16_sdwa v60, v59, v123 dst_sel:DWORD dst_unused:UNUSED_PAD src0_sel:DWORD src1_sel:WORD_1
	v_mul_f16_sdwa v115, v116, v123 dst_sel:DWORD dst_unused:UNUSED_PAD src0_sel:DWORD src1_sel:WORD_1
	v_fma_f16 v60, v116, v123, -v60
	v_fma_f16 v59, v59, v123, v115
	v_pack_b32_f16 v59, v60, v59
	ds_write2_b32 v61, v58, v59 offset0:16 offset1:178
	s_waitcnt lgkmcnt(1)
	v_lshrrev_b32_e32 v58, 16, v62
	s_waitcnt vmcnt(0)
	v_mul_f16_sdwa v59, v58, v124 dst_sel:DWORD dst_unused:UNUSED_PAD src0_sel:DWORD src1_sel:WORD_1
	v_mul_f16_sdwa v60, v62, v124 dst_sel:DWORD dst_unused:UNUSED_PAD src0_sel:DWORD src1_sel:WORD_1
	v_fma_f16 v59, v62, v124, -v59
	v_fma_f16 v58, v58, v124, v60
	v_pack_b32_f16 v58, v59, v58
	ds_write_b32 v63, v58 offset:6480
	s_and_saveexec_b64 s[2:3], s[0:1]
	s_cbranch_execz .LBB0_9
; %bb.8:
	global_load_dword v58, v[53:54], off offset:396
	global_load_dword v59, v[53:54], off offset:1044
	;; [unrolled: 1-line block ×6, first 2 shown]
	v_add_co_u32_e32 v53, vcc, s4, v53
	v_addc_co_u32_e32 v54, vcc, 0, v54, vcc
	global_load_dword v121, v[53:54], off offset:188
	global_load_dword v122, v[53:54], off offset:836
	;; [unrolled: 1-line block ×5, first 2 shown]
	v_add_u32_e32 v115, 0x100, v63
	ds_read2_b32 v[53:54], v115 offset0:35 offset1:197
	v_add_u32_e32 v126, 0x600, v63
	v_add_u32_e32 v127, 0xb00, v63
	;; [unrolled: 1-line block ×4, first 2 shown]
	s_waitcnt lgkmcnt(0)
	v_lshrrev_b32_e32 v116, 16, v53
	v_lshrrev_b32_e32 v117, 16, v54
	s_waitcnt vmcnt(10)
	v_mul_f16_sdwa v118, v116, v58 dst_sel:DWORD dst_unused:UNUSED_PAD src0_sel:DWORD src1_sel:WORD_1
	v_mul_f16_sdwa v130, v53, v58 dst_sel:DWORD dst_unused:UNUSED_PAD src0_sel:DWORD src1_sel:WORD_1
	s_waitcnt vmcnt(9)
	v_mul_f16_sdwa v131, v117, v59 dst_sel:DWORD dst_unused:UNUSED_PAD src0_sel:DWORD src1_sel:WORD_1
	v_mul_f16_sdwa v132, v54, v59 dst_sel:DWORD dst_unused:UNUSED_PAD src0_sel:DWORD src1_sel:WORD_1
	v_fma_f16 v53, v53, v58, -v118
	v_fma_f16 v58, v116, v58, v130
	v_fma_f16 v54, v54, v59, -v131
	v_fma_f16 v59, v117, v59, v132
	v_pack_b32_f16 v53, v53, v58
	v_pack_b32_f16 v54, v54, v59
	ds_write2_b32 v115, v53, v54 offset0:35 offset1:197
	ds_read2_b32 v[53:54], v126 offset0:39 offset1:201
	ds_read2_b32 v[58:59], v127 offset0:43 offset1:205
	;; [unrolled: 1-line block ×4, first 2 shown]
	ds_read_b32 v130, v63 offset:6876
	s_waitcnt lgkmcnt(4)
	v_lshrrev_b32_e32 v131, 16, v53
	s_waitcnt vmcnt(8)
	v_mul_f16_sdwa v132, v53, v60 dst_sel:DWORD dst_unused:UNUSED_PAD src0_sel:DWORD src1_sel:WORD_1
	v_lshrrev_b32_e32 v133, 16, v54
	s_waitcnt vmcnt(7)
	v_mul_f16_sdwa v134, v54, v62 dst_sel:DWORD dst_unused:UNUSED_PAD src0_sel:DWORD src1_sel:WORD_1
	s_waitcnt lgkmcnt(3)
	v_lshrrev_b32_e32 v135, 16, v58
	s_waitcnt vmcnt(6)
	v_mul_f16_sdwa v136, v58, v119 dst_sel:DWORD dst_unused:UNUSED_PAD src0_sel:DWORD src1_sel:WORD_1
	v_lshrrev_b32_e32 v137, 16, v59
	s_waitcnt vmcnt(5)
	v_mul_f16_sdwa v138, v59, v120 dst_sel:DWORD dst_unused:UNUSED_PAD src0_sel:DWORD src1_sel:WORD_1
	;; [unrolled: 7-line block ×3, first 2 shown]
	s_waitcnt lgkmcnt(1)
	v_lshrrev_b32_e32 v143, 16, v117
	s_waitcnt vmcnt(2)
	v_mul_f16_sdwa v144, v117, v123 dst_sel:DWORD dst_unused:UNUSED_PAD src0_sel:DWORD src1_sel:WORD_1
	v_lshrrev_b32_e32 v145, 16, v118
	v_mul_f16_sdwa v148, v131, v60 dst_sel:DWORD dst_unused:UNUSED_PAD src0_sel:DWORD src1_sel:WORD_1
	v_fma_f16 v131, v131, v60, v132
	v_mul_f16_sdwa v132, v133, v62 dst_sel:DWORD dst_unused:UNUSED_PAD src0_sel:DWORD src1_sel:WORD_1
	s_waitcnt vmcnt(1)
	v_mul_f16_sdwa v146, v118, v124 dst_sel:DWORD dst_unused:UNUSED_PAD src0_sel:DWORD src1_sel:WORD_1
	v_fma_f16 v133, v133, v62, v134
	v_mul_f16_sdwa v134, v135, v119 dst_sel:DWORD dst_unused:UNUSED_PAD src0_sel:DWORD src1_sel:WORD_1
	v_fma_f16 v135, v135, v119, v136
	;; [unrolled: 2-line block ×6, first 2 shown]
	v_mul_f16_sdwa v144, v145, v124 dst_sel:DWORD dst_unused:UNUSED_PAD src0_sel:DWORD src1_sel:WORD_1
	v_fma_f16 v53, v53, v60, -v148
	v_fma_f16 v54, v54, v62, -v132
	s_waitcnt lgkmcnt(0)
	v_lshrrev_b32_e32 v147, 16, v130
	v_fma_f16 v145, v145, v124, v146
	v_fma_f16 v58, v58, v119, -v134
	v_fma_f16 v59, v59, v120, -v136
	;; [unrolled: 1-line block ×6, first 2 shown]
	v_pack_b32_f16 v53, v53, v131
	v_pack_b32_f16 v54, v54, v133
	s_waitcnt vmcnt(0)
	v_mul_f16_sdwa v146, v147, v125 dst_sel:DWORD dst_unused:UNUSED_PAD src0_sel:DWORD src1_sel:WORD_1
	v_pack_b32_f16 v58, v58, v135
	v_pack_b32_f16 v59, v59, v137
	;; [unrolled: 1-line block ×6, first 2 shown]
	ds_write2_b32 v126, v53, v54 offset0:39 offset1:201
	ds_write2_b32 v127, v58, v59 offset0:43 offset1:205
	;; [unrolled: 1-line block ×4, first 2 shown]
	v_mul_f16_sdwa v53, v130, v125 dst_sel:DWORD dst_unused:UNUSED_PAD src0_sel:DWORD src1_sel:WORD_1
	v_fma_f16 v117, v130, v125, -v146
	v_fma_f16 v53, v147, v125, v53
	v_pack_b32_f16 v53, v117, v53
	ds_write_b32 v63, v53 offset:6876
.LBB0_9:
	s_or_b64 exec, exec, s[2:3]
	s_waitcnt lgkmcnt(0)
	s_barrier
	ds_read2_b32 v[53:54], v63 offset1:162
	ds_read2_b32 v[59:60], v55 offset0:68 offset1:230
	ds_read2_b32 v[55:56], v56 offset0:8 offset1:170
	;; [unrolled: 1-line block ×4, first 2 shown]
	ds_read_b32 v115, v63 offset:6480
	s_and_saveexec_b64 s[2:3], s[0:1]
	s_cbranch_execz .LBB0_11
; %bb.10:
	v_add_u32_e32 v3, 0x100, v63
	ds_read2_b32 v[47:48], v3 offset0:35 offset1:197
	v_add_u32_e32 v3, 0x600, v63
	ds_read2_b32 v[49:50], v3 offset0:39 offset1:201
	v_add_u32_e32 v3, 0xb00, v63
	ds_read2_b32 v[51:52], v3 offset0:43 offset1:205
	v_add_u32_e32 v3, 0x1000, v63
	ds_read2_b32 v[5:6], v3 offset0:47 offset1:209
	v_add_u32_e32 v3, 0x1500, v63
	ds_read2_b32 v[3:4], v3 offset0:51 offset1:213
	ds_read_b32 v78, v63 offset:6876
	s_waitcnt lgkmcnt(5)
	v_lshrrev_b32_e32 v108, 16, v47
	v_lshrrev_b32_e32 v110, 16, v48
	s_waitcnt lgkmcnt(4)
	v_lshrrev_b32_e32 v109, 16, v49
	v_lshrrev_b32_e32 v112, 16, v50
	;; [unrolled: 3-line block ×5, first 2 shown]
	s_waitcnt lgkmcnt(0)
	v_lshrrev_b32_e32 v82, 16, v78
.LBB0_11:
	s_or_b64 exec, exec, s[2:3]
	s_waitcnt lgkmcnt(5)
	v_pk_add_f16 v116, v53, v54
	s_waitcnt lgkmcnt(4)
	v_pk_add_f16 v116, v116, v59
	v_pk_add_f16 v116, v116, v60
	s_waitcnt lgkmcnt(3)
	v_pk_add_f16 v116, v116, v55
	;; [unrolled: 3-line block ×5, first 2 shown]
	v_pk_add_f16 v54, v54, v115 neg_lo:[0,1] neg_hi:[0,1]
	s_mov_b32 s12, 0xb853
	v_pk_add_f16 v116, v116, v115
	v_pk_mul_f16 v115, v54, s12 op_sel_hi:[1,0]
	s_movk_i32 s4, 0x3abb
	s_mov_b32 s13, 0xbb47
	v_pk_add_f16 v132, v62, v59
	v_pk_add_f16 v59, v59, v62 neg_lo:[0,1] neg_hi:[0,1]
	v_pk_fma_f16 v118, v117, s4, v115 op_sel:[0,0,1] op_sel_hi:[1,0,0]
	v_pk_fma_f16 v115, v117, s4, v115 op_sel:[0,0,1] op_sel_hi:[1,0,0] neg_lo:[0,0,1] neg_hi:[0,0,1]
	s_mov_b32 s2, 0xffff
	s_movk_i32 s5, 0x36a6
	v_pk_mul_f16 v62, v59, s13 op_sel_hi:[1,0]
	v_bfi_b32 v119, s2, v118, v115
	v_pk_fma_f16 v133, v132, s5, v62 op_sel:[0,0,1] op_sel_hi:[1,0,0]
	v_pk_fma_f16 v62, v132, s5, v62 op_sel:[0,0,1] op_sel_hi:[1,0,0] neg_lo:[0,0,1] neg_hi:[0,0,1]
	v_pk_add_f16 v119, v53, v119
	v_mul_f16_sdwa v120, v54, s13 dst_sel:DWORD dst_unused:UNUSED_PAD src0_sel:WORD_1 src1_sel:DWORD
	s_mov_b32 s17, 0xba0c
	v_bfi_b32 v134, s2, v133, v62
	v_fma_f16 v121, v117, s5, v120
	s_mov_b32 s16, 0xb93d
	v_pk_add_f16 v119, v134, v119
	v_mul_f16_sdwa v134, v59, s17 dst_sel:DWORD dst_unused:UNUSED_PAD src0_sel:WORD_1 src1_sel:DWORD
	v_add_f16_e32 v121, v53, v121
	v_mul_f16_sdwa v122, v117, s5 dst_sel:DWORD dst_unused:UNUSED_PAD src0_sel:WORD_1 src1_sel:DWORD
	s_movk_i32 s20, 0x3b47
	v_fma_f16 v120, v117, s5, -v120
	v_fma_f16 v135, v132, s16, v134
	v_fma_f16 v123, v54, s20, v122
	v_add_f16_e32 v120, v53, v120
	v_fma_f16 v122, v54, s13, v122
	s_mov_b32 s15, 0xbbeb
	v_add_f16_e32 v121, v135, v121
	v_mul_f16_sdwa v135, v132, s16 dst_sel:DWORD dst_unused:UNUSED_PAD src0_sel:WORD_1 src1_sel:DWORD
	v_fma_f16 v134, v132, s16, -v134
	v_add_f16_sdwa v122, v53, v122 dst_sel:DWORD dst_unused:UNUSED_PAD src0_sel:WORD_1 src1_sel:DWORD
	v_mul_f16_sdwa v124, v54, s15 dst_sel:DWORD dst_unused:UNUSED_PAD src0_sel:WORD_1 src1_sel:DWORD
	s_mov_b32 s14, 0xb08e
	v_add_f16_e32 v120, v134, v120
	v_fma_f16 v134, v59, s17, v135
	s_movk_i32 s22, 0x3482
	v_fma_f16 v125, v117, s14, v124
	s_movk_i32 s24, 0x3a0c
	v_add_f16_e32 v122, v134, v122
	v_mul_f16_sdwa v134, v59, s22 dst_sel:DWORD dst_unused:UNUSED_PAD src0_sel:WORD_1 src1_sel:DWORD
	s_mov_b32 s19, 0xbbad
	v_add_f16_e32 v125, v53, v125
	v_mul_f16_sdwa v126, v117, s14 dst_sel:DWORD dst_unused:UNUSED_PAD src0_sel:WORD_1 src1_sel:DWORD
	s_movk_i32 s18, 0x3beb
	v_fma_f16 v124, v117, s14, -v124
	v_fma_f16 v136, v59, s24, v135
	v_fma_f16 v135, v132, s19, v134
	v_fma_f16 v127, v54, s18, v126
	v_add_f16_e32 v124, v53, v124
	v_fma_f16 v126, v54, s15, v126
	v_add_f16_e32 v125, v135, v125
	v_mul_f16_sdwa v135, v132, s19 dst_sel:DWORD dst_unused:UNUSED_PAD src0_sel:WORD_1 src1_sel:DWORD
	v_fma_f16 v134, v132, s19, -v134
	v_add_f16_sdwa v126, v53, v126 dst_sel:DWORD dst_unused:UNUSED_PAD src0_sel:WORD_1 src1_sel:DWORD
	v_mul_f16_sdwa v128, v54, s17 dst_sel:DWORD dst_unused:UNUSED_PAD src0_sel:WORD_1 src1_sel:DWORD
	v_add_f16_e32 v124, v134, v124
	v_fma_f16 v134, v59, s22, v135
	v_add_f16_sdwa v123, v53, v123 dst_sel:DWORD dst_unused:UNUSED_PAD src0_sel:WORD_1 src1_sel:DWORD
	v_fma_f16 v129, v117, s16, v128
	s_mov_b32 s21, 0xb482
	v_add_f16_e32 v126, v134, v126
	v_mul_f16_sdwa v134, v59, s18 dst_sel:DWORD dst_unused:UNUSED_PAD src0_sel:WORD_1 src1_sel:DWORD
	v_add_f16_e32 v129, v53, v129
	v_mul_f16_sdwa v130, v117, s16 dst_sel:DWORD dst_unused:UNUSED_PAD src0_sel:WORD_1 src1_sel:DWORD
	v_fma_f16 v128, v117, s16, -v128
	v_add_f16_e32 v123, v136, v123
	v_fma_f16 v136, v59, s21, v135
	v_fma_f16 v135, v132, s14, v134
	;; [unrolled: 1-line block ×3, first 2 shown]
	v_add_f16_e32 v128, v53, v128
	v_fma_f16 v130, v54, s17, v130
	v_add_f16_e32 v129, v135, v129
	v_mul_f16_sdwa v135, v132, s14 dst_sel:DWORD dst_unused:UNUSED_PAD src0_sel:WORD_1 src1_sel:DWORD
	v_fma_f16 v134, v132, s14, -v134
	v_add_f16_sdwa v130, v53, v130 dst_sel:DWORD dst_unused:UNUSED_PAD src0_sel:WORD_1 src1_sel:DWORD
	v_add_f16_e32 v128, v134, v128
	v_fma_f16 v134, v59, s18, v135
	v_add_f16_e32 v130, v134, v130
	v_pk_add_f16 v134, v61, v60
	v_pk_add_f16 v60, v60, v61 neg_lo:[0,1] neg_hi:[0,1]
	v_add_f16_sdwa v127, v53, v127 dst_sel:DWORD dst_unused:UNUSED_PAD src0_sel:WORD_1 src1_sel:DWORD
	v_pk_mul_f16 v61, v60, s15 op_sel_hi:[1,0]
	v_add_f16_sdwa v131, v53, v131 dst_sel:DWORD dst_unused:UNUSED_PAD src0_sel:WORD_1 src1_sel:DWORD
	v_add_f16_e32 v127, v136, v127
	v_fma_f16 v136, v59, s15, v135
	v_pk_fma_f16 v135, v134, s14, v61 op_sel:[0,0,1] op_sel_hi:[1,0,0]
	v_pk_fma_f16 v61, v134, s14, v61 op_sel:[0,0,1] op_sel_hi:[1,0,0] neg_lo:[0,0,1] neg_hi:[0,0,1]
	v_add_f16_e32 v131, v136, v131
	v_bfi_b32 v136, s2, v135, v61
	v_pk_add_f16 v119, v136, v119
	v_mul_f16_sdwa v136, v60, s22 dst_sel:DWORD dst_unused:UNUSED_PAD src0_sel:WORD_1 src1_sel:DWORD
	v_fma_f16 v137, v134, s19, v136
	v_add_f16_e32 v121, v137, v121
	v_mul_f16_sdwa v137, v134, s19 dst_sel:DWORD dst_unused:UNUSED_PAD src0_sel:WORD_1 src1_sel:DWORD
	v_fma_f16 v136, v134, s19, -v136
	v_add_f16_e32 v120, v136, v120
	v_fma_f16 v136, v60, s22, v137
	v_add_f16_e32 v122, v136, v122
	v_mul_f16_sdwa v136, v60, s20 dst_sel:DWORD dst_unused:UNUSED_PAD src0_sel:WORD_1 src1_sel:DWORD
	v_fma_f16 v138, v60, s21, v137
	v_fma_f16 v137, v134, s5, v136
	v_add_f16_e32 v125, v137, v125
	v_mul_f16_sdwa v137, v134, s5 dst_sel:DWORD dst_unused:UNUSED_PAD src0_sel:WORD_1 src1_sel:DWORD
	v_fma_f16 v136, v134, s5, -v136
	v_add_f16_e32 v124, v136, v124
	v_fma_f16 v136, v60, s20, v137
	v_add_f16_e32 v126, v136, v126
	v_mul_f16_sdwa v136, v60, s12 dst_sel:DWORD dst_unused:UNUSED_PAD src0_sel:WORD_1 src1_sel:DWORD
	v_add_f16_e32 v123, v138, v123
	v_fma_f16 v138, v60, s13, v137
	v_fma_f16 v137, v134, s4, v136
	v_add_f16_e32 v129, v137, v129
	v_mul_f16_sdwa v137, v134, s4 dst_sel:DWORD dst_unused:UNUSED_PAD src0_sel:WORD_1 src1_sel:DWORD
	v_fma_f16 v136, v134, s4, -v136
	v_add_f16_e32 v128, v136, v128
	v_fma_f16 v136, v60, s12, v137
	v_add_f16_e32 v130, v136, v130
	v_pk_add_f16 v136, v58, v55
	v_pk_add_f16 v55, v55, v58 neg_lo:[0,1] neg_hi:[0,1]
	s_movk_i32 s23, 0x3853
	v_pk_mul_f16 v58, v55, s17 op_sel_hi:[1,0]
	v_add_f16_e32 v127, v138, v127
	v_fma_f16 v138, v60, s23, v137
	v_pk_fma_f16 v137, v136, s16, v58 op_sel:[0,0,1] op_sel_hi:[1,0,0]
	v_pk_fma_f16 v58, v136, s16, v58 op_sel:[0,0,1] op_sel_hi:[1,0,0] neg_lo:[0,0,1] neg_hi:[0,0,1]
	v_add_f16_e32 v131, v138, v131
	v_bfi_b32 v138, s2, v137, v58
	v_pk_add_f16 v119, v138, v119
	v_mul_f16_sdwa v138, v55, s18 dst_sel:DWORD dst_unused:UNUSED_PAD src0_sel:WORD_1 src1_sel:DWORD
	v_fma_f16 v139, v136, s14, v138
	v_add_f16_e32 v121, v139, v121
	v_mul_f16_sdwa v139, v136, s14 dst_sel:DWORD dst_unused:UNUSED_PAD src0_sel:WORD_1 src1_sel:DWORD
	v_fma_f16 v138, v136, s14, -v138
	v_add_f16_e32 v120, v138, v120
	v_fma_f16 v138, v55, s18, v139
	v_add_f16_e32 v122, v138, v122
	v_mul_f16_sdwa v138, v55, s12 dst_sel:DWORD dst_unused:UNUSED_PAD src0_sel:WORD_1 src1_sel:DWORD
	v_fma_f16 v140, v55, s15, v139
	v_fma_f16 v139, v136, s4, v138
	v_add_f16_e32 v125, v139, v125
	v_mul_f16_sdwa v139, v136, s4 dst_sel:DWORD dst_unused:UNUSED_PAD src0_sel:WORD_1 src1_sel:DWORD
	v_fma_f16 v138, v136, s4, -v138
	v_add_f16_e32 v124, v138, v124
	v_fma_f16 v138, v55, s12, v139
	v_add_f16_e32 v126, v138, v126
	v_mul_f16_sdwa v138, v55, s21 dst_sel:DWORD dst_unused:UNUSED_PAD src0_sel:WORD_1 src1_sel:DWORD
	v_add_f16_e32 v123, v140, v123
	v_fma_f16 v140, v55, s23, v139
	v_fma_f16 v139, v136, s19, v138
	v_add_f16_e32 v129, v139, v129
	v_mul_f16_sdwa v139, v136, s19 dst_sel:DWORD dst_unused:UNUSED_PAD src0_sel:WORD_1 src1_sel:DWORD
	v_fma_f16 v138, v136, s19, -v138
	v_add_f16_e32 v128, v138, v128
	v_fma_f16 v138, v55, s21, v139
	v_add_f16_e32 v130, v138, v130
	v_pk_add_f16 v138, v57, v56
	v_pk_add_f16 v56, v56, v57 neg_lo:[0,1] neg_hi:[0,1]
	v_pk_mul_f16 v57, v56, s21 op_sel_hi:[1,0]
	v_add_f16_e32 v127, v140, v127
	v_fma_f16 v140, v55, s22, v139
	v_pk_fma_f16 v139, v138, s19, v57 op_sel:[0,0,1] op_sel_hi:[1,0,0]
	v_pk_fma_f16 v57, v138, s19, v57 op_sel:[0,0,1] op_sel_hi:[1,0,0] neg_lo:[0,0,1] neg_hi:[0,0,1]
	v_add_f16_e32 v131, v140, v131
	v_bfi_b32 v140, s2, v139, v57
	v_pk_add_f16 v119, v140, v119
	v_mul_f16_sdwa v140, v56, s23 dst_sel:DWORD dst_unused:UNUSED_PAD src0_sel:WORD_1 src1_sel:DWORD
	v_fma_f16 v141, v138, s4, v140
	v_add_f16_e32 v121, v141, v121
	v_mul_f16_sdwa v141, v138, s4 dst_sel:DWORD dst_unused:UNUSED_PAD src0_sel:WORD_1 src1_sel:DWORD
	v_fma_f16 v140, v138, s4, -v140
	v_add_f16_e32 v120, v140, v120
	v_fma_f16 v140, v56, s23, v141
	v_add_f16_e32 v122, v140, v122
	v_mul_f16_sdwa v140, v56, s17 dst_sel:DWORD dst_unused:UNUSED_PAD src0_sel:WORD_1 src1_sel:DWORD
	v_fma_f16 v142, v56, s12, v141
	v_fma_f16 v141, v138, s16, v140
	v_add_f16_e32 v125, v141, v125
	v_mul_f16_sdwa v141, v138, s16 dst_sel:DWORD dst_unused:UNUSED_PAD src0_sel:WORD_1 src1_sel:DWORD
	v_fma_f16 v140, v138, s16, -v140
	v_add_f16_e32 v124, v140, v124
	v_fma_f16 v140, v56, s17, v141
	v_add_f16_e32 v126, v140, v126
	v_mul_f16_sdwa v140, v56, s20 dst_sel:DWORD dst_unused:UNUSED_PAD src0_sel:WORD_1 src1_sel:DWORD
	v_add_f16_e32 v123, v142, v123
	v_fma_f16 v142, v56, s24, v141
	v_fma_f16 v141, v138, s5, v140
	v_add_f16_e32 v129, v141, v129
	v_mul_f16_sdwa v141, v138, s5 dst_sel:DWORD dst_unused:UNUSED_PAD src0_sel:WORD_1 src1_sel:DWORD
	v_add_f16_e32 v127, v142, v127
	v_fma_f16 v142, v56, s13, v141
	s_barrier
	v_add_f16_e32 v131, v142, v131
	ds_write2_b32 v76, v116, v119 offset1:1
	v_pack_b32_f16 v116, v125, v127
	v_pack_b32_f16 v119, v121, v123
	ds_write2_b32 v76, v119, v116 offset0:2 offset1:3
	v_pack_b32_f16 v116, v129, v131
	ds_write_b32 v76, v116 offset:16
	v_pk_mul_f16 v116, v117, s19 op_sel_hi:[1,0]
	v_pk_fma_f16 v117, v54, s21, v116 op_sel:[0,0,1] op_sel_hi:[1,0,0]
	v_pk_fma_f16 v54, v54, s21, v116 op_sel:[0,0,1] op_sel_hi:[1,0,0] neg_lo:[1,0,0] neg_hi:[1,0,0]
	v_alignbit_b32 v116, s0, v53, 16
	v_alignbit_b32 v119, s0, v117, 16
	v_pk_add_f16 v116, v116, v117
	v_pk_mul_f16 v117, v132, s4 op_sel_hi:[1,0]
	v_pk_add_f16 v54, v53, v54 op_sel:[1,0] op_sel_hi:[0,1]
	v_pk_fma_f16 v121, v59, s23, v117 op_sel:[0,0,1] op_sel_hi:[1,0,0]
	v_pk_fma_f16 v59, v59, s23, v117 op_sel:[0,0,1] op_sel_hi:[1,0,0] neg_lo:[1,0,0] neg_hi:[1,0,0]
	v_pk_add_f16 v54, v59, v54
	v_pk_add_f16 v59, v121, v116
	v_pk_mul_f16 v116, v134, s16 op_sel_hi:[1,0]
	v_pk_fma_f16 v117, v60, s17, v116 op_sel:[0,0,1] op_sel_hi:[1,0,0]
	v_pk_fma_f16 v60, v60, s17, v116 op_sel:[0,0,1] op_sel_hi:[1,0,0] neg_lo:[1,0,0] neg_hi:[1,0,0]
	v_pk_add_f16 v54, v60, v54
	v_pk_mul_f16 v60, v136, s5 op_sel_hi:[1,0]
	v_pk_add_f16 v119, v53, v119
	v_alignbit_b32 v123, s0, v121, 16
	v_pk_add_f16 v59, v117, v59
	v_pk_fma_f16 v116, v55, s20, v60 op_sel:[0,0,1] op_sel_hi:[1,0,0]
	v_pk_fma_f16 v55, v55, s20, v60 op_sel:[0,0,1] op_sel_hi:[1,0,0] neg_lo:[1,0,0] neg_hi:[1,0,0]
	v_pk_add_f16 v119, v123, v119
	v_alignbit_b32 v121, s0, v117, 16
	v_pk_add_f16 v54, v55, v54
	v_pk_add_f16 v55, v116, v59
	v_pk_mul_f16 v59, v138, s14 op_sel_hi:[1,0]
	v_fma_f16 v140, v138, s5, -v140
	v_pk_add_f16 v119, v121, v119
	v_alignbit_b32 v117, s0, v116, 16
	v_pk_fma_f16 v60, v56, s15, v59 op_sel:[0,0,1] op_sel_hi:[1,0,0]
	v_add_f16_e32 v128, v140, v128
	v_fma_f16 v140, v56, s20, v141
	v_pk_add_f16 v117, v117, v119
	v_alignbit_b32 v116, s0, v60, 16
	v_pk_fma_f16 v56, v56, s15, v59 op_sel:[0,0,1] op_sel_hi:[1,0,0] neg_lo:[1,0,0] neg_hi:[1,0,0]
	v_pk_add_f16 v116, v116, v117
	v_pk_add_f16 v54, v56, v54
	;; [unrolled: 1-line block ×3, first 2 shown]
	v_add_f16_e32 v130, v140, v130
	v_alignbit_b32 v55, v55, v54, 16
	v_pack_b32_f16 v54, v116, v54
	ds_write2_b32 v76, v54, v55 offset0:5 offset1:6
	v_pack_b32_f16 v54, v124, v126
	v_pack_b32_f16 v55, v128, v130
	ds_write2_b32 v76, v55, v54 offset0:7 offset1:8
	v_bfi_b32 v54, s2, v115, v118
	v_pk_add_f16 v53, v53, v54
	v_bfi_b32 v54, s2, v62, v133
	v_pk_add_f16 v53, v54, v53
	;; [unrolled: 2-line block ×5, first 2 shown]
	v_pack_b32_f16 v54, v120, v122
	ds_write2_b32 v76, v54, v53 offset0:9 offset1:10
	s_and_saveexec_b64 s[2:3], s[0:1]
	s_cbranch_execz .LBB0_13
; %bb.12:
	v_sub_f16_e32 v53, v48, v78
	v_mul_f16_e32 v54, 0xb482, v53
	v_add_f16_e32 v55, v82, v110
	v_sub_f16_e32 v57, v49, v4
	v_fma_f16 v56, v55, s19, v54
	v_mul_f16_e32 v58, 0x3853, v57
	v_add_f16_e32 v59, v79, v109
	v_add_f16_e32 v56, v108, v56
	v_fma_f16 v60, v59, s4, v58
	v_add_f16_e32 v56, v60, v56
	v_sub_f16_e32 v60, v50, v3
	v_mul_f16_e32 v61, 0xba0c, v60
	v_add_f16_e32 v62, v80, v112
	v_fma_f16 v76, v62, s16, v61
	v_add_f16_e32 v56, v76, v56
	v_sub_f16_e32 v76, v51, v6
	v_mul_f16_e32 v115, 0x3b47, v76
	;; [unrolled: 5-line block ×3, first 2 shown]
	v_add_f16_e32 v119, v114, v113
	v_fma_f16 v120, v119, s14, v118
	v_sub_f16_e32 v121, v110, v82
	v_fma_f16 v54, v55, s19, -v54
	v_add_f16_e32 v56, v120, v56
	v_add_f16_e32 v120, v78, v48
	v_mul_f16_e32 v122, 0xb482, v121
	v_sub_f16_e32 v125, v109, v79
	v_add_f16_e32 v54, v108, v54
	v_fma_f16 v58, v59, s4, -v58
	v_fma_f16 v123, v120, s19, -v122
	v_add_f16_e32 v124, v4, v49
	v_mul_f16_e32 v126, 0x3853, v125
	v_add_f16_e32 v54, v58, v54
	v_fma_f16 v58, v62, s16, -v61
	v_add_f16_e32 v123, v47, v123
	v_fma_f16 v127, v124, s4, -v126
	v_sub_f16_e32 v128, v112, v80
	v_add_f16_e32 v54, v58, v54
	v_fma_f16 v58, v116, s5, -v115
	v_add_f16_e32 v123, v127, v123
	v_add_f16_e32 v127, v3, v50
	v_mul_f16_e32 v129, 0xba0c, v128
	v_add_f16_e32 v54, v58, v54
	v_fma_f16 v58, v119, s14, -v118
	v_fma_f16 v130, v127, s16, -v129
	v_sub_f16_e32 v131, v111, v81
	v_add_f16_e32 v54, v58, v54
	v_fma_f16 v58, v120, s19, v122
	v_add_f16_e32 v123, v130, v123
	v_add_f16_e32 v130, v6, v51
	v_mul_f16_e32 v132, 0x3b47, v131
	v_add_f16_e32 v58, v47, v58
	v_fma_f16 v61, v124, s4, v126
	v_fma_f16 v133, v130, s5, -v132
	v_sub_f16_e32 v134, v113, v114
	v_add_f16_e32 v58, v61, v58
	v_fma_f16 v61, v127, s16, v129
	v_add_f16_e32 v123, v133, v123
	v_add_f16_e32 v133, v5, v52
	v_mul_f16_e32 v135, 0xbbeb, v134
	v_add_f16_e32 v58, v61, v58
	v_fma_f16 v61, v130, s5, v132
	v_add_f16_e32 v58, v61, v58
	v_fma_f16 v61, v133, s14, v135
	v_add_f16_e32 v58, v61, v58
	v_mul_f16_e32 v61, 0xb93d, v55
	v_fma_f16 v115, v53, s24, v61
	v_mul_f16_e32 v118, 0xb08e, v59
	v_add_f16_e32 v115, v108, v115
	v_fma_f16 v122, v57, s15, v118
	v_add_f16_e32 v115, v122, v115
	v_mul_f16_e32 v122, 0x3abb, v62
	v_fma_f16 v126, v60, s23, v122
	v_add_f16_e32 v115, v126, v115
	v_mul_f16_e32 v126, 0xbbad, v116
	;; [unrolled: 3-line block ×3, first 2 shown]
	v_fma_f16 v132, v117, s13, v129
	v_fma_f16 v136, v133, s14, -v135
	v_add_f16_e32 v115, v132, v115
	v_mul_f16_e32 v132, 0xba0c, v121
	v_add_f16_e32 v123, v136, v123
	v_fma_f16 v135, v120, s16, v132
	v_mul_f16_e32 v136, 0x3beb, v125
	v_add_f16_e32 v135, v47, v135
	v_fma_f16 v137, v124, s14, v136
	v_add_f16_e32 v135, v137, v135
	v_mul_f16_e32 v137, 0xb853, v128
	v_fma_f16 v138, v127, s4, v137
	v_add_f16_e32 v135, v138, v135
	v_mul_f16_e32 v138, 0xb482, v131
	v_fma_f16 v139, v130, s19, v138
	v_add_f16_e32 v135, v139, v135
	v_mul_f16_e32 v139, 0x3b47, v134
	v_fma_f16 v140, v133, s5, v139
	v_add_f16_e32 v135, v140, v135
	v_mul_f16_e32 v140, 0xb08e, v55
	v_add_f16_e32 v48, v48, v47
	v_fma_f16 v141, v53, s18, v140
	v_mul_f16_e32 v142, 0xbbad, v59
	v_add_f16_e32 v48, v49, v48
	v_add_f16_e32 v141, v108, v141
	v_fma_f16 v143, v57, s21, v142
	v_add_f16_e32 v48, v50, v48
	v_add_f16_e32 v141, v143, v141
	v_mul_f16_e32 v143, 0x36a6, v62
	v_add_f16_e32 v48, v51, v48
	v_fma_f16 v144, v60, s13, v143
	v_add_f16_e32 v48, v52, v48
	v_add_f16_e32 v141, v144, v141
	v_mul_f16_e32 v144, 0x3abb, v116
	;; [unrolled: 5-line block ×3, first 2 shown]
	v_add_f16_e32 v3, v3, v5
	v_fma_f16 v5, v53, s17, v61
	v_fma_f16 v146, v117, s24, v145
	v_add_f16_e32 v5, v108, v5
	v_fma_f16 v6, v57, s18, v118
	v_add_f16_e32 v141, v146, v141
	v_mul_f16_e32 v146, 0xbbeb, v121
	v_add_f16_e32 v5, v6, v5
	v_fma_f16 v6, v60, s12, v122
	v_fma_f16 v147, v120, s14, v146
	v_mul_f16_e32 v148, 0x3482, v125
	v_add_f16_e32 v5, v6, v5
	v_fma_f16 v6, v76, s21, v126
	v_add_f16_e32 v147, v47, v147
	v_fma_f16 v149, v124, s19, v148
	;; [unrolled: 2-line block ×3, first 2 shown]
	v_add_f16_e32 v147, v149, v147
	v_mul_f16_e32 v149, 0x3b47, v128
	v_add_f16_e32 v5, v6, v5
	v_fma_f16 v6, v120, s16, -v132
	v_fma_f16 v150, v127, s5, v149
	v_add_f16_e32 v6, v47, v6
	v_fma_f16 v48, v124, s14, -v136
	v_add_f16_e32 v147, v150, v147
	v_mul_f16_e32 v150, 0xb853, v131
	v_add_f16_e32 v6, v48, v6
	v_fma_f16 v48, v127, s4, -v137
	v_fma_f16 v151, v130, s4, v150
	v_add_f16_e32 v6, v48, v6
	v_fma_f16 v48, v130, s19, -v138
	v_add_f16_e32 v147, v151, v147
	v_mul_f16_e32 v151, 0xba0c, v134
	v_add_f16_e32 v6, v48, v6
	v_fma_f16 v48, v133, s5, -v139
	v_fma_f16 v152, v133, s16, v151
	v_add_f16_e32 v6, v48, v6
	v_fma_f16 v48, v53, s15, v140
	v_add_f16_e32 v147, v152, v147
	v_mul_f16_e32 v152, 0x36a6, v55
	v_add_f16_e32 v48, v108, v48
	v_fma_f16 v49, v57, s22, v142
	v_fma_f16 v153, v53, s20, v152
	v_mul_f16_e32 v154, 0xb93d, v59
	v_add_f16_e32 v48, v49, v48
	v_fma_f16 v49, v60, s20, v143
	v_add_f16_e32 v153, v108, v153
	v_fma_f16 v155, v57, s24, v154
	;; [unrolled: 2-line block ×3, first 2 shown]
	v_add_f16_e32 v153, v155, v153
	v_mul_f16_e32 v155, 0xbbad, v62
	v_add_f16_e32 v48, v49, v48
	v_fma_f16 v49, v117, s17, v145
	v_fma_f16 v156, v60, s21, v155
	v_add_f16_e32 v48, v49, v48
	v_fma_f16 v49, v120, s14, -v146
	v_add_f16_e32 v153, v156, v153
	v_mul_f16_e32 v156, 0xb08e, v116
	v_add_f16_e32 v49, v47, v49
	v_fma_f16 v50, v124, s19, -v148
	v_fma_f16 v157, v76, s15, v156
	v_add_f16_e32 v49, v50, v49
	v_fma_f16 v50, v127, s5, -v149
	v_add_f16_e32 v153, v157, v153
	v_mul_f16_e32 v157, 0x3abb, v119
	v_add_f16_e32 v49, v50, v49
	v_fma_f16 v50, v130, s4, -v150
	v_fma_f16 v158, v117, s12, v157
	v_add_f16_e32 v49, v50, v49
	v_fma_f16 v50, v133, s16, -v151
	v_add_f16_e32 v153, v158, v153
	v_mul_f16_e32 v158, 0xbb47, v121
	v_add_f16_e32 v49, v50, v49
	v_fma_f16 v50, v53, s13, v152
	v_fma_f16 v159, v120, s5, v158
	v_mul_f16_e32 v160, 0xba0c, v125
	v_add_f16_e32 v50, v108, v50
	v_fma_f16 v51, v57, s17, v154
	v_add_f16_e32 v159, v47, v159
	v_fma_f16 v161, v124, s16, v160
	;; [unrolled: 2-line block ×3, first 2 shown]
	v_add_f16_e32 v159, v161, v159
	v_mul_f16_e32 v161, 0x3482, v128
	v_add_f16_e32 v50, v51, v50
	v_fma_f16 v51, v76, s18, v156
	v_fma_f16 v162, v127, s19, v161
	v_add_f16_e32 v50, v51, v50
	v_fma_f16 v51, v117, s23, v157
	v_add_f16_e32 v159, v162, v159
	v_mul_f16_e32 v162, 0x3beb, v131
	v_add_f16_e32 v50, v51, v50
	v_fma_f16 v51, v120, s5, -v158
	v_fma_f16 v163, v130, s14, v162
	v_add_f16_e32 v51, v47, v51
	v_fma_f16 v52, v124, s16, -v160
	v_add_f16_e32 v159, v163, v159
	v_mul_f16_e32 v163, 0x3853, v134
	v_add_f16_e32 v51, v52, v51
	v_fma_f16 v52, v127, s19, -v161
	v_fma_f16 v164, v133, s4, v163
	v_mul_f16_e32 v55, 0x3abb, v55
	v_add_f16_e32 v51, v52, v51
	v_fma_f16 v52, v130, s14, -v162
	v_add_f16_e32 v159, v164, v159
	v_fma_f16 v164, v53, s23, v55
	v_mul_f16_e32 v59, 0x36a6, v59
	v_add_f16_e32 v51, v52, v51
	v_fma_f16 v52, v133, s4, -v163
	v_add_f16_e32 v164, v108, v164
	v_fma_f16 v165, v57, s20, v59
	v_mul_f16_e32 v62, 0xb08e, v62
	v_add_f16_e32 v3, v4, v3
	v_add_f16_e32 v4, v110, v108
	;; [unrolled: 1-line block ×3, first 2 shown]
	v_fma_f16 v52, v53, s12, v55
	v_add_f16_e32 v164, v165, v164
	v_fma_f16 v165, v60, s18, v62
	v_mul_f16_e32 v116, 0xb93d, v116
	v_add_f16_e32 v4, v109, v4
	v_add_f16_e32 v52, v108, v52
	v_fma_f16 v53, v57, s13, v59
	v_add_f16_e32 v164, v165, v164
	v_fma_f16 v165, v76, s24, v116
	v_mul_f16_e32 v119, 0xbbad, v119
	v_add_f16_e32 v4, v112, v4
	v_add_f16_e32 v52, v53, v52
	;; [unrolled: 6-line block ×5, first 2 shown]
	v_fma_f16 v53, v120, s4, -v121
	v_add_f16_e32 v165, v166, v165
	v_fma_f16 v166, v127, s14, v128
	v_mul_f16_e32 v131, 0xba0c, v131
	v_add_f16_e32 v4, v81, v4
	v_add_f16_e32 v47, v47, v53
	v_fma_f16 v53, v124, s5, -v125
	v_add_f16_e32 v165, v166, v165
	v_fma_f16 v166, v130, s16, v131
	v_mul_f16_e32 v134, 0xb482, v134
	v_add_f16_e32 v4, v80, v4
	v_add_f16_e32 v47, v53, v47
	v_fma_f16 v53, v127, s14, -v128
	v_add_f16_e32 v165, v166, v165
	v_fma_f16 v166, v133, s19, v134
	v_add_f16_e32 v4, v79, v4
	v_add_f16_e32 v47, v53, v47
	v_fma_f16 v53, v130, s16, -v131
	v_add_f16_e32 v165, v166, v165
	v_add_f16_e32 v3, v78, v3
	;; [unrolled: 1-line block ×4, first 2 shown]
	v_fma_f16 v53, v133, s19, -v134
	v_add_f16_e32 v47, v53, v47
	v_lshlrev_b32_e32 v53, 2, v77
	v_pack_b32_f16 v55, v165, v164
	v_pack_b32_f16 v3, v3, v4
	ds_write2_b32 v53, v3, v55 offset1:1
	v_pack_b32_f16 v3, v147, v141
	v_pack_b32_f16 v4, v159, v153
	ds_write2_b32 v53, v4, v3 offset0:2 offset1:3
	v_pack_b32_f16 v3, v58, v54
	v_pack_b32_f16 v4, v135, v115
	ds_write2_b32 v53, v4, v3 offset0:4 offset1:5
	;; [unrolled: 3-line block ×4, first 2 shown]
	v_pack_b32_f16 v3, v47, v52
	ds_write_b32 v53, v3 offset:40
.LBB0_13:
	s_or_b64 exec, exec, s[2:3]
	v_add_u32_e32 v4, 0x800, v63
	s_waitcnt lgkmcnt(0)
	s_barrier
	ds_read2_b32 v[53:54], v4 offset0:82 offset1:181
	v_add_u32_e32 v47, 0x1200, v63
	ds_read2_b32 v[55:56], v47 offset0:36 offset1:135
	v_add_u32_e32 v48, 0xc00, v63
	ds_read2_b32 v[59:60], v48 offset0:24 offset1:123
	s_waitcnt lgkmcnt(2)
	v_lshrrev_b32_e32 v108, 16, v53
	v_mul_f16_sdwa v125, v7, v108 dst_sel:DWORD dst_unused:UNUSED_PAD src0_sel:WORD_1 src1_sel:DWORD
	s_waitcnt lgkmcnt(1)
	v_lshrrev_b32_e32 v109, 16, v55
	v_fma_f16 v125, v7, v53, v125
	v_mul_f16_sdwa v53, v7, v53 dst_sel:DWORD dst_unused:UNUSED_PAD src0_sel:WORD_1 src1_sel:DWORD
	v_fma_f16 v7, v7, v108, -v53
	v_mul_f16_sdwa v53, v8, v109 dst_sel:DWORD dst_unused:UNUSED_PAD src0_sel:WORD_1 src1_sel:DWORD
	v_add_u32_e32 v3, 0x1400, v63
	v_lshrrev_b32_e32 v111, 16, v54
	v_fma_f16 v53, v8, v55, v53
	v_mul_f16_sdwa v55, v8, v55 dst_sel:DWORD dst_unused:UNUSED_PAD src0_sel:WORD_1 src1_sel:DWORD
	ds_read2_b32 v[61:62], v3 offset0:106 offset1:205
	v_fma_f16 v8, v8, v109, -v55
	v_mul_f16_sdwa v55, v9, v111 dst_sel:DWORD dst_unused:UNUSED_PAD src0_sel:WORD_1 src1_sel:DWORD
	v_lshrrev_b32_e32 v112, 16, v56
	v_fma_f16 v55, v9, v54, v55
	v_mul_f16_sdwa v54, v9, v54 dst_sel:DWORD dst_unused:UNUSED_PAD src0_sel:WORD_1 src1_sel:DWORD
	v_fma_f16 v9, v9, v111, -v54
	v_mul_f16_sdwa v54, v10, v112 dst_sel:DWORD dst_unused:UNUSED_PAD src0_sel:WORD_1 src1_sel:DWORD
	s_waitcnt lgkmcnt(1)
	v_lshrrev_b32_e32 v114, 16, v59
	v_fma_f16 v54, v10, v56, v54
	v_mul_f16_sdwa v56, v10, v56 dst_sel:DWORD dst_unused:UNUSED_PAD src0_sel:WORD_1 src1_sel:DWORD
	v_fma_f16 v10, v10, v112, -v56
	v_mul_f16_sdwa v56, v11, v114 dst_sel:DWORD dst_unused:UNUSED_PAD src0_sel:WORD_1 src1_sel:DWORD
	s_waitcnt lgkmcnt(0)
	v_lshrrev_b32_e32 v115, 16, v61
	v_add_u32_e32 v5, 0xe00, v63
	v_fma_f16 v56, v11, v59, v56
	v_mul_f16_sdwa v59, v11, v59 dst_sel:DWORD dst_unused:UNUSED_PAD src0_sel:WORD_1 src1_sel:DWORD
	ds_read2_b32 v[78:79], v5 offset0:94 offset1:193
	v_fma_f16 v11, v11, v114, -v59
	v_mul_f16_sdwa v59, v12, v115 dst_sel:DWORD dst_unused:UNUSED_PAD src0_sel:WORD_1 src1_sel:DWORD
	v_add_u32_e32 v50, 0x1800, v63
	v_lshrrev_b32_e32 v117, 16, v60
	v_fma_f16 v59, v12, v61, v59
	v_mul_f16_sdwa v61, v12, v61 dst_sel:DWORD dst_unused:UNUSED_PAD src0_sel:WORD_1 src1_sel:DWORD
	ds_read2_b32 v[80:81], v50 offset0:48 offset1:147
	v_fma_f16 v12, v12, v115, -v61
	v_mul_f16_sdwa v61, v13, v117 dst_sel:DWORD dst_unused:UNUSED_PAD src0_sel:WORD_1 src1_sel:DWORD
	v_lshrrev_b32_e32 v118, 16, v62
	v_fma_f16 v61, v13, v60, v61
	v_mul_f16_sdwa v60, v13, v60 dst_sel:DWORD dst_unused:UNUSED_PAD src0_sel:WORD_1 src1_sel:DWORD
	v_fma_f16 v13, v13, v117, -v60
	v_mul_f16_sdwa v60, v14, v118 dst_sel:DWORD dst_unused:UNUSED_PAD src0_sel:WORD_1 src1_sel:DWORD
	s_waitcnt lgkmcnt(1)
	v_lshrrev_b32_e32 v120, 16, v78
	v_fma_f16 v60, v14, v62, v60
	v_mul_f16_sdwa v62, v14, v62 dst_sel:DWORD dst_unused:UNUSED_PAD src0_sel:WORD_1 src1_sel:DWORD
	v_fma_f16 v14, v14, v118, -v62
	v_mul_f16_sdwa v62, v15, v120 dst_sel:DWORD dst_unused:UNUSED_PAD src0_sel:WORD_1 src1_sel:DWORD
	s_waitcnt lgkmcnt(0)
	v_lshrrev_b32_e32 v121, 16, v80
	v_fma_f16 v62, v15, v78, v62
	v_mul_f16_sdwa v78, v15, v78 dst_sel:DWORD dst_unused:UNUSED_PAD src0_sel:WORD_1 src1_sel:DWORD
	v_fma_f16 v15, v15, v120, -v78
	v_mul_f16_sdwa v78, v16, v121 dst_sel:DWORD dst_unused:UNUSED_PAD src0_sel:WORD_1 src1_sel:DWORD
	ds_read2_b32 v[51:52], v63 offset1:99
	v_lshrrev_b32_e32 v123, 16, v79
	v_fma_f16 v78, v16, v80, v78
	v_mul_f16_sdwa v80, v16, v80 dst_sel:DWORD dst_unused:UNUSED_PAD src0_sel:WORD_1 src1_sel:DWORD
	v_fma_f16 v16, v16, v121, -v80
	v_mul_f16_sdwa v80, v17, v123 dst_sel:DWORD dst_unused:UNUSED_PAD src0_sel:WORD_1 src1_sel:DWORD
	v_lshrrev_b32_e32 v124, 16, v81
	v_fma_f16 v80, v17, v79, v80
	v_mul_f16_sdwa v79, v17, v79 dst_sel:DWORD dst_unused:UNUSED_PAD src0_sel:WORD_1 src1_sel:DWORD
	v_fma_f16 v17, v17, v123, -v79
	v_mul_f16_sdwa v79, v18, v124 dst_sel:DWORD dst_unused:UNUSED_PAD src0_sel:WORD_1 src1_sel:DWORD
	v_fma_f16 v79, v18, v81, v79
	v_mul_f16_sdwa v81, v18, v81 dst_sel:DWORD dst_unused:UNUSED_PAD src0_sel:WORD_1 src1_sel:DWORD
	v_add_f16_e32 v108, v125, v53
	s_waitcnt lgkmcnt(0)
	v_lshrrev_b32_e32 v82, 16, v51
	v_add_u32_e32 v49, 0x200, v63
	v_fma_f16 v18, v18, v124, -v81
	v_add_f16_e32 v81, v51, v125
	v_fma_f16 v51, v108, -0.5, v51
	v_sub_f16_e32 v108, v7, v8
	s_mov_b32 s2, 0xbaee
	s_movk_i32 s3, 0x3aee
	ds_read2_b32 v[57:58], v49 offset0:70 offset1:169
	v_fma_f16 v109, v108, s2, v51
	v_fma_f16 v51, v108, s3, v51
	v_add_f16_e32 v108, v82, v7
	v_add_f16_e32 v7, v7, v8
	;; [unrolled: 1-line block ×3, first 2 shown]
	v_fma_f16 v7, v7, -0.5, v82
	v_sub_f16_e32 v8, v125, v53
	v_add_f16_e32 v82, v55, v54
	v_lshrrev_b32_e32 v110, 16, v52
	v_add_f16_e32 v81, v81, v53
	v_fma_f16 v53, v8, s3, v7
	v_fma_f16 v7, v8, s2, v7
	v_add_f16_e32 v8, v52, v55
	v_fma_f16 v52, v82, -0.5, v52
	v_sub_f16_e32 v82, v9, v10
	v_fma_f16 v111, v82, s2, v52
	v_fma_f16 v52, v82, s3, v52
	v_add_f16_e32 v82, v110, v9
	v_add_f16_e32 v9, v9, v10
	;; [unrolled: 1-line block ×3, first 2 shown]
	v_fma_f16 v9, v9, -0.5, v110
	v_sub_f16_e32 v10, v55, v54
	v_add_f16_e32 v55, v56, v59
	s_waitcnt lgkmcnt(0)
	v_lshrrev_b32_e32 v113, 16, v57
	v_add_u32_e32 v6, 0x400, v63
	v_add_f16_e32 v8, v8, v54
	v_fma_f16 v54, v10, s3, v9
	v_fma_f16 v9, v10, s2, v9
	v_add_f16_e32 v10, v57, v56
	v_fma_f16 v55, v55, -0.5, v57
	v_sub_f16_e32 v57, v11, v12
	ds_read2_b32 v[76:77], v6 offset0:140 offset1:239
	v_fma_f16 v110, v57, s2, v55
	v_fma_f16 v55, v57, s3, v55
	v_add_f16_e32 v57, v113, v11
	v_add_f16_e32 v11, v11, v12
	;; [unrolled: 1-line block ×4, first 2 shown]
	v_fma_f16 v11, v11, -0.5, v113
	v_sub_f16_e32 v12, v56, v59
	v_add_f16_e32 v59, v61, v60
	v_lshrrev_b32_e32 v116, 16, v58
	v_fma_f16 v56, v12, s3, v11
	v_fma_f16 v11, v12, s2, v11
	v_add_f16_e32 v12, v58, v61
	v_fma_f16 v58, v59, -0.5, v58
	v_sub_f16_e32 v59, v13, v14
	v_fma_f16 v112, v59, s2, v58
	v_fma_f16 v58, v59, s3, v58
	v_add_f16_e32 v59, v116, v13
	v_add_f16_e32 v13, v13, v14
	;; [unrolled: 1-line block ×3, first 2 shown]
	v_fma_f16 v13, v13, -0.5, v116
	v_sub_f16_e32 v14, v61, v60
	v_add_f16_e32 v61, v62, v78
	s_waitcnt lgkmcnt(0)
	v_lshrrev_b32_e32 v119, 16, v76
	v_add_f16_e32 v12, v12, v60
	v_fma_f16 v60, v14, s3, v13
	v_fma_f16 v13, v14, s2, v13
	v_add_f16_e32 v14, v76, v62
	v_fma_f16 v61, v61, -0.5, v76
	v_sub_f16_e32 v76, v15, v16
	v_fma_f16 v113, v76, s2, v61
	v_fma_f16 v61, v76, s3, v61
	v_add_f16_e32 v76, v119, v15
	v_add_f16_e32 v15, v15, v16
	;; [unrolled: 1-line block ×4, first 2 shown]
	v_fma_f16 v15, v15, -0.5, v119
	v_sub_f16_e32 v16, v62, v78
	v_add_f16_e32 v78, v80, v79
	v_lshrrev_b32_e32 v122, 16, v77
	v_fma_f16 v62, v16, s3, v15
	v_fma_f16 v15, v16, s2, v15
	v_add_f16_e32 v16, v77, v80
	v_fma_f16 v77, v78, -0.5, v77
	v_sub_f16_e32 v78, v17, v18
	v_fma_f16 v114, v78, s2, v77
	v_fma_f16 v77, v78, s3, v77
	v_add_f16_e32 v78, v122, v17
	v_add_f16_e32 v17, v17, v18
	;; [unrolled: 1-line block ×3, first 2 shown]
	v_fma_f16 v17, v17, -0.5, v122
	v_sub_f16_e32 v18, v80, v79
	v_pack_b32_f16 v7, v51, v7
	v_add_f16_e32 v16, v16, v79
	v_fma_f16 v79, v18, s3, v17
	v_fma_f16 v17, v18, s2, v17
	s_barrier
	v_pack_b32_f16 v18, v81, v108
	v_pack_b32_f16 v53, v109, v53
	ds_write_b32 v83, v7 offset:88
	v_pack_b32_f16 v7, v8, v82
	v_pack_b32_f16 v8, v111, v54
	ds_write2_b32 v83, v18, v53 offset1:11
	ds_write2_b32 v84, v7, v8 offset1:11
	v_pack_b32_f16 v7, v52, v9
	ds_write_b32 v84, v7 offset:88
	v_pack_b32_f16 v7, v10, v57
	v_pack_b32_f16 v8, v110, v56
	ds_write2_b32 v85, v7, v8 offset1:11
	v_pack_b32_f16 v7, v55, v11
	ds_write_b32 v85, v7 offset:88
	v_pack_b32_f16 v7, v12, v59
	v_pack_b32_f16 v8, v112, v60
	;; [unrolled: 5-line block ×4, first 2 shown]
	ds_write2_b32 v88, v7, v8 offset1:11
	v_pack_b32_f16 v7, v77, v17
	ds_write_b32 v88, v7 offset:88
	s_waitcnt lgkmcnt(0)
	s_barrier
	ds_read2_b32 v[7:8], v63 offset1:99
	ds_read2_b32 v[9:10], v4 offset0:82 offset1:181
	ds_read2_b32 v[11:12], v47 offset0:36 offset1:135
	;; [unrolled: 1-line block ×8, first 2 shown]
	s_waitcnt lgkmcnt(8)
	v_lshrrev_b32_e32 v57, 16, v7
	s_waitcnt lgkmcnt(7)
	v_lshrrev_b32_e32 v58, 16, v9
	v_mul_f16_sdwa v88, v21, v58 dst_sel:DWORD dst_unused:UNUSED_PAD src0_sel:WORD_1 src1_sel:DWORD
	s_waitcnt lgkmcnt(6)
	v_lshrrev_b32_e32 v59, 16, v11
	v_fma_f16 v88, v21, v9, v88
	v_mul_f16_sdwa v9, v21, v9 dst_sel:DWORD dst_unused:UNUSED_PAD src0_sel:WORD_1 src1_sel:DWORD
	v_fma_f16 v9, v21, v58, -v9
	v_mul_f16_sdwa v21, v22, v59 dst_sel:DWORD dst_unused:UNUSED_PAD src0_sel:WORD_1 src1_sel:DWORD
	v_lshrrev_b32_e32 v61, 16, v10
	v_fma_f16 v21, v22, v11, v21
	v_mul_f16_sdwa v11, v22, v11 dst_sel:DWORD dst_unused:UNUSED_PAD src0_sel:WORD_1 src1_sel:DWORD
	v_fma_f16 v11, v22, v59, -v11
	v_mul_f16_sdwa v22, v19, v61 dst_sel:DWORD dst_unused:UNUSED_PAD src0_sel:WORD_1 src1_sel:DWORD
	;; [unrolled: 5-line block ×3, first 2 shown]
	s_waitcnt lgkmcnt(4)
	v_lshrrev_b32_e32 v77, 16, v15
	v_fma_f16 v19, v20, v12, v19
	v_mul_f16_sdwa v12, v20, v12 dst_sel:DWORD dst_unused:UNUSED_PAD src0_sel:WORD_1 src1_sel:DWORD
	v_fma_f16 v12, v20, v62, -v12
	v_mul_f16_sdwa v20, v23, v77 dst_sel:DWORD dst_unused:UNUSED_PAD src0_sel:WORD_1 src1_sel:DWORD
	s_waitcnt lgkmcnt(3)
	v_lshrrev_b32_e32 v78, 16, v17
	v_fma_f16 v20, v23, v15, v20
	v_mul_f16_sdwa v15, v23, v15 dst_sel:DWORD dst_unused:UNUSED_PAD src0_sel:WORD_1 src1_sel:DWORD
	v_fma_f16 v15, v23, v77, -v15
	v_mul_f16_sdwa v23, v24, v78 dst_sel:DWORD dst_unused:UNUSED_PAD src0_sel:WORD_1 src1_sel:DWORD
	v_lshrrev_b32_e32 v80, 16, v16
	v_fma_f16 v23, v24, v17, v23
	v_mul_f16_sdwa v17, v24, v17 dst_sel:DWORD dst_unused:UNUSED_PAD src0_sel:WORD_1 src1_sel:DWORD
	v_fma_f16 v17, v24, v78, -v17
	v_mul_f16_sdwa v24, v25, v80 dst_sel:DWORD dst_unused:UNUSED_PAD src0_sel:WORD_1 src1_sel:DWORD
	;; [unrolled: 5-line block ×3, first 2 shown]
	s_waitcnt lgkmcnt(1)
	v_lshrrev_b32_e32 v83, 16, v53
	v_fma_f16 v25, v26, v18, v25
	v_mul_f16_sdwa v18, v26, v18 dst_sel:DWORD dst_unused:UNUSED_PAD src0_sel:WORD_1 src1_sel:DWORD
	v_fma_f16 v18, v26, v81, -v18
	v_mul_f16_sdwa v26, v27, v83 dst_sel:DWORD dst_unused:UNUSED_PAD src0_sel:WORD_1 src1_sel:DWORD
	s_waitcnt lgkmcnt(0)
	v_lshrrev_b32_e32 v84, 16, v55
	v_fma_f16 v26, v27, v53, v26
	v_mul_f16_sdwa v53, v27, v53 dst_sel:DWORD dst_unused:UNUSED_PAD src0_sel:WORD_1 src1_sel:DWORD
	v_fma_f16 v27, v27, v83, -v53
	v_mul_f16_sdwa v53, v28, v84 dst_sel:DWORD dst_unused:UNUSED_PAD src0_sel:WORD_1 src1_sel:DWORD
	v_lshrrev_b32_e32 v86, 16, v54
	v_fma_f16 v53, v28, v55, v53
	v_mul_f16_sdwa v55, v28, v55 dst_sel:DWORD dst_unused:UNUSED_PAD src0_sel:WORD_1 src1_sel:DWORD
	v_fma_f16 v28, v28, v84, -v55
	v_mul_f16_sdwa v55, v29, v86 dst_sel:DWORD dst_unused:UNUSED_PAD src0_sel:WORD_1 src1_sel:DWORD
	;; [unrolled: 5-line block ×3, first 2 shown]
	v_fma_f16 v54, v30, v56, v54
	v_mul_f16_sdwa v56, v30, v56 dst_sel:DWORD dst_unused:UNUSED_PAD src0_sel:WORD_1 src1_sel:DWORD
	v_add_f16_e32 v58, v88, v21
	v_fma_f16 v30, v30, v87, -v56
	v_add_f16_e32 v56, v7, v88
	v_fma_f16 v7, v58, -0.5, v7
	v_sub_f16_e32 v58, v9, v11
	v_fma_f16 v59, v58, s2, v7
	v_fma_f16 v7, v58, s3, v7
	v_add_f16_e32 v58, v57, v9
	v_add_f16_e32 v9, v9, v11
	;; [unrolled: 1-line block ×3, first 2 shown]
	v_fma_f16 v9, v9, -0.5, v57
	v_sub_f16_e32 v11, v88, v21
	v_add_f16_e32 v57, v22, v19
	v_lshrrev_b32_e32 v60, 16, v8
	v_add_f16_e32 v56, v56, v21
	v_fma_f16 v21, v11, s3, v9
	v_fma_f16 v9, v11, s2, v9
	v_add_f16_e32 v11, v8, v22
	v_fma_f16 v8, v57, -0.5, v8
	v_sub_f16_e32 v57, v10, v12
	v_fma_f16 v61, v57, s2, v8
	v_fma_f16 v8, v57, s3, v8
	v_add_f16_e32 v57, v60, v10
	v_add_f16_e32 v10, v10, v12
	;; [unrolled: 1-line block ×3, first 2 shown]
	v_fma_f16 v10, v10, -0.5, v60
	v_sub_f16_e32 v12, v22, v19
	v_add_f16_e32 v22, v20, v23
	v_lshrrev_b32_e32 v76, 16, v13
	v_add_f16_e32 v11, v11, v19
	v_fma_f16 v19, v12, s3, v10
	v_fma_f16 v10, v12, s2, v10
	v_add_f16_e32 v12, v13, v20
	v_fma_f16 v13, v22, -0.5, v13
	v_sub_f16_e32 v22, v15, v17
	v_fma_f16 v60, v22, s2, v13
	v_fma_f16 v13, v22, s3, v13
	v_add_f16_e32 v22, v76, v15
	v_add_f16_e32 v15, v15, v17
	;; [unrolled: 1-line block ×4, first 2 shown]
	v_fma_f16 v15, v15, -0.5, v76
	v_sub_f16_e32 v17, v20, v23
	v_add_f16_e32 v23, v24, v25
	v_lshrrev_b32_e32 v79, 16, v14
	v_fma_f16 v20, v17, s3, v15
	v_fma_f16 v15, v17, s2, v15
	v_add_f16_e32 v17, v14, v24
	v_fma_f16 v14, v23, -0.5, v14
	v_sub_f16_e32 v23, v16, v18
	v_fma_f16 v62, v23, s2, v14
	v_fma_f16 v14, v23, s3, v14
	v_add_f16_e32 v23, v79, v16
	v_add_f16_e32 v16, v16, v18
	;; [unrolled: 1-line block ×4, first 2 shown]
	v_fma_f16 v16, v16, -0.5, v79
	v_sub_f16_e32 v18, v24, v25
	v_add_f16_e32 v25, v26, v53
	v_lshrrev_b32_e32 v82, 16, v51
	v_fma_f16 v24, v18, s3, v16
	v_fma_f16 v16, v18, s2, v16
	v_add_f16_e32 v18, v51, v26
	v_fma_f16 v25, v25, -0.5, v51
	v_sub_f16_e32 v51, v27, v28
	v_fma_f16 v76, v51, s2, v25
	v_fma_f16 v25, v51, s3, v25
	v_add_f16_e32 v51, v82, v27
	v_add_f16_e32 v27, v27, v28
	;; [unrolled: 1-line block ×3, first 2 shown]
	v_fma_f16 v27, v27, -0.5, v82
	v_sub_f16_e32 v26, v26, v53
	v_add_f16_e32 v53, v55, v54
	v_lshrrev_b32_e32 v85, 16, v52
	v_add_f16_e32 v51, v51, v28
	v_fma_f16 v28, v26, s3, v27
	v_fma_f16 v26, v26, s2, v27
	v_add_f16_e32 v27, v52, v55
	v_fma_f16 v52, v53, -0.5, v52
	v_sub_f16_e32 v53, v29, v30
	v_fma_f16 v77, v53, s2, v52
	v_fma_f16 v52, v53, s3, v52
	v_add_f16_e32 v53, v85, v29
	v_add_f16_e32 v29, v29, v30
	;; [unrolled: 1-line block ×3, first 2 shown]
	v_fma_f16 v29, v29, -0.5, v85
	v_sub_f16_e32 v30, v55, v54
	v_pack_b32_f16 v7, v7, v9
	v_add_f16_e32 v27, v27, v54
	v_fma_f16 v54, v30, s3, v29
	v_fma_f16 v29, v30, s2, v29
	s_barrier
	v_pack_b32_f16 v30, v56, v58
	v_pack_b32_f16 v21, v59, v21
	ds_write_b32 v89, v7 offset:264
	v_pack_b32_f16 v7, v11, v57
	v_pack_b32_f16 v9, v61, v19
	ds_write2_b32 v89, v30, v21 offset1:33
	ds_write2_b32 v90, v7, v9 offset1:33
	v_pack_b32_f16 v7, v8, v10
	ds_write_b32 v90, v7 offset:264
	v_pack_b32_f16 v7, v12, v22
	v_pack_b32_f16 v8, v60, v20
	ds_write2_b32 v91, v7, v8 offset1:33
	v_pack_b32_f16 v7, v13, v15
	ds_write_b32 v91, v7 offset:264
	v_pack_b32_f16 v7, v17, v23
	v_pack_b32_f16 v8, v62, v24
	;; [unrolled: 5-line block ×4, first 2 shown]
	ds_write2_b32 v94, v7, v8 offset1:33
	v_pack_b32_f16 v7, v52, v29
	ds_write_b32 v94, v7 offset:264
	s_waitcnt lgkmcnt(0)
	s_barrier
	ds_read2_b32 v[7:8], v63 offset1:99
	ds_read2_b32 v[9:10], v4 offset0:82 offset1:181
	ds_read2_b32 v[11:12], v47 offset0:36 offset1:135
	;; [unrolled: 1-line block ×8, first 2 shown]
	s_waitcnt lgkmcnt(8)
	v_lshrrev_b32_e32 v25, 16, v7
	s_waitcnt lgkmcnt(7)
	v_lshrrev_b32_e32 v26, 16, v9
	v_mul_f16_sdwa v76, v31, v26 dst_sel:DWORD dst_unused:UNUSED_PAD src0_sel:WORD_1 src1_sel:DWORD
	s_waitcnt lgkmcnt(6)
	v_lshrrev_b32_e32 v27, 16, v11
	v_fma_f16 v76, v31, v9, v76
	v_mul_f16_sdwa v9, v31, v9 dst_sel:DWORD dst_unused:UNUSED_PAD src0_sel:WORD_1 src1_sel:DWORD
	v_fma_f16 v9, v31, v26, -v9
	v_mul_f16_sdwa v26, v32, v27 dst_sel:DWORD dst_unused:UNUSED_PAD src0_sel:WORD_1 src1_sel:DWORD
	v_lshrrev_b32_e32 v29, 16, v10
	v_fma_f16 v26, v32, v11, v26
	v_mul_f16_sdwa v11, v32, v11 dst_sel:DWORD dst_unused:UNUSED_PAD src0_sel:WORD_1 src1_sel:DWORD
	v_fma_f16 v11, v32, v27, -v11
	v_mul_f16_sdwa v27, v31, v29 dst_sel:DWORD dst_unused:UNUSED_PAD src0_sel:WORD_1 src1_sel:DWORD
	;; [unrolled: 5-line block ×3, first 2 shown]
	s_waitcnt lgkmcnt(4)
	v_lshrrev_b32_e32 v52, 16, v15
	v_fma_f16 v29, v32, v12, v29
	v_mul_f16_sdwa v12, v32, v12 dst_sel:DWORD dst_unused:UNUSED_PAD src0_sel:WORD_1 src1_sel:DWORD
	v_fma_f16 v12, v32, v30, -v12
	v_mul_f16_sdwa v30, v33, v52 dst_sel:DWORD dst_unused:UNUSED_PAD src0_sel:WORD_1 src1_sel:DWORD
	s_waitcnt lgkmcnt(3)
	v_lshrrev_b32_e32 v53, 16, v17
	v_lshrrev_b32_e32 v56, 16, v18
	v_fma_f16 v30, v33, v15, v30
	v_mul_f16_sdwa v15, v33, v15 dst_sel:DWORD dst_unused:UNUSED_PAD src0_sel:WORD_1 src1_sel:DWORD
	v_lshrrev_b32_e32 v55, 16, v16
	v_fma_f16 v15, v33, v52, -v15
	v_mul_f16_sdwa v31, v34, v53 dst_sel:DWORD dst_unused:UNUSED_PAD src0_sel:WORD_1 src1_sel:DWORD
	v_mul_f16_sdwa v33, v36, v56 dst_sel:DWORD dst_unused:UNUSED_PAD src0_sel:WORD_1 src1_sel:DWORD
	s_waitcnt lgkmcnt(1)
	v_lshrrev_b32_e32 v58, 16, v21
	v_lshrrev_b32_e32 v61, 16, v22
	v_fma_f16 v31, v34, v17, v31
	v_mul_f16_sdwa v17, v34, v17 dst_sel:DWORD dst_unused:UNUSED_PAD src0_sel:WORD_1 src1_sel:DWORD
	v_mul_f16_sdwa v32, v35, v55 dst_sel:DWORD dst_unused:UNUSED_PAD src0_sel:WORD_1 src1_sel:DWORD
	v_fma_f16 v33, v36, v18, v33
	v_mul_f16_sdwa v18, v36, v18 dst_sel:DWORD dst_unused:UNUSED_PAD src0_sel:WORD_1 src1_sel:DWORD
	s_waitcnt lgkmcnt(0)
	v_lshrrev_b32_e32 v59, 16, v23
	v_fma_f16 v17, v34, v53, -v17
	v_fma_f16 v32, v35, v16, v32
	v_mul_f16_sdwa v16, v35, v16 dst_sel:DWORD dst_unused:UNUSED_PAD src0_sel:WORD_1 src1_sel:DWORD
	v_fma_f16 v18, v36, v56, -v18
	v_mul_f16_sdwa v34, v37, v58 dst_sel:DWORD dst_unused:UNUSED_PAD src0_sel:WORD_1 src1_sel:DWORD
	v_mul_f16_sdwa v36, v39, v61 dst_sel:DWORD dst_unused:UNUSED_PAD src0_sel:WORD_1 src1_sel:DWORD
	v_lshrrev_b32_e32 v62, 16, v24
	v_fma_f16 v16, v35, v55, -v16
	v_fma_f16 v34, v37, v21, v34
	v_mul_f16_sdwa v21, v37, v21 dst_sel:DWORD dst_unused:UNUSED_PAD src0_sel:WORD_1 src1_sel:DWORD
	v_mul_f16_sdwa v35, v38, v59 dst_sel:DWORD dst_unused:UNUSED_PAD src0_sel:WORD_1 src1_sel:DWORD
	v_fma_f16 v36, v39, v22, v36
	v_mul_f16_sdwa v22, v39, v22 dst_sel:DWORD dst_unused:UNUSED_PAD src0_sel:WORD_1 src1_sel:DWORD
	v_fma_f16 v21, v37, v58, -v21
	v_fma_f16 v35, v38, v23, v35
	v_mul_f16_sdwa v23, v38, v23 dst_sel:DWORD dst_unused:UNUSED_PAD src0_sel:WORD_1 src1_sel:DWORD
	v_fma_f16 v22, v39, v61, -v22
	v_mul_f16_sdwa v37, v40, v62 dst_sel:DWORD dst_unused:UNUSED_PAD src0_sel:WORD_1 src1_sel:DWORD
	v_add_f16_e32 v39, v76, v26
	v_fma_f16 v23, v38, v59, -v23
	v_fma_f16 v37, v40, v24, v37
	v_mul_f16_sdwa v24, v40, v24 dst_sel:DWORD dst_unused:UNUSED_PAD src0_sel:WORD_1 src1_sel:DWORD
	v_add_f16_e32 v38, v7, v76
	v_fma_f16 v7, v39, -0.5, v7
	v_sub_f16_e32 v39, v9, v11
	v_fma_f16 v24, v40, v62, -v24
	v_fma_f16 v40, v39, s2, v7
	v_fma_f16 v7, v39, s3, v7
	v_add_f16_e32 v39, v25, v9
	v_add_f16_e32 v9, v9, v11
	;; [unrolled: 1-line block ×4, first 2 shown]
	v_fma_f16 v9, v9, -0.5, v25
	v_sub_f16_e32 v11, v76, v26
	v_add_f16_e32 v26, v27, v29
	v_lshrrev_b32_e32 v28, 16, v8
	v_fma_f16 v25, v11, s3, v9
	v_fma_f16 v9, v11, s2, v9
	v_add_f16_e32 v11, v8, v27
	v_fma_f16 v8, v26, -0.5, v8
	v_sub_f16_e32 v26, v10, v12
	v_fma_f16 v52, v26, s2, v8
	v_fma_f16 v8, v26, s3, v8
	v_add_f16_e32 v26, v28, v10
	v_add_f16_e32 v10, v10, v12
	;; [unrolled: 1-line block ×3, first 2 shown]
	v_fma_f16 v10, v10, -0.5, v28
	v_sub_f16_e32 v12, v27, v29
	v_add_f16_e32 v28, v30, v31
	v_lshrrev_b32_e32 v51, 16, v13
	v_fma_f16 v27, v12, s3, v10
	v_fma_f16 v10, v12, s2, v10
	v_add_f16_e32 v12, v13, v30
	v_fma_f16 v13, v28, -0.5, v13
	v_sub_f16_e32 v28, v15, v17
	v_add_f16_e32 v11, v11, v29
	v_fma_f16 v29, v28, s2, v13
	v_fma_f16 v13, v28, s3, v13
	v_add_f16_e32 v28, v51, v15
	v_add_f16_e32 v15, v15, v17
	v_add_f16_e32 v12, v12, v31
	v_add_f16_e32 v28, v28, v17
	v_fma_f16 v15, v15, -0.5, v51
	v_sub_f16_e32 v17, v30, v31
	v_add_f16_e32 v31, v32, v33
	v_lshrrev_b32_e32 v54, 16, v14
	v_fma_f16 v30, v17, s3, v15
	v_fma_f16 v15, v17, s2, v15
	v_add_f16_e32 v17, v14, v32
	v_fma_f16 v14, v31, -0.5, v14
	v_sub_f16_e32 v31, v16, v18
	v_fma_f16 v51, v31, s2, v14
	v_fma_f16 v14, v31, s3, v14
	v_add_f16_e32 v31, v54, v16
	v_add_f16_e32 v16, v16, v18
	v_add_f16_e32 v17, v17, v33
	v_add_f16_e32 v31, v31, v18
	v_fma_f16 v16, v16, -0.5, v54
	v_sub_f16_e32 v18, v32, v33
	v_add_f16_e32 v33, v34, v35
	v_lshrrev_b32_e32 v57, 16, v19
	v_fma_f16 v32, v18, s3, v16
	v_fma_f16 v16, v18, s2, v16
	v_add_f16_e32 v18, v19, v34
	v_fma_f16 v19, v33, -0.5, v19
	v_sub_f16_e32 v33, v21, v23
	;; [unrolled: 15-line block ×3, first 2 shown]
	v_fma_f16 v54, v35, s2, v20
	v_fma_f16 v20, v35, s3, v20
	v_add_f16_e32 v35, v60, v22
	v_add_f16_e32 v22, v22, v24
	v_pack_b32_f16 v7, v7, v9
	v_pack_b32_f16 v9, v11, v26
	v_add_f16_e32 v35, v35, v24
	v_fma_f16 v22, v22, -0.5, v60
	v_sub_f16_e32 v24, v36, v37
	s_barrier
	ds_write2_b32 v49, v7, v9 offset0:70 offset1:169
	v_pack_b32_f16 v7, v52, v27
	v_pack_b32_f16 v8, v8, v10
	v_fma_f16 v36, v24, s3, v22
	v_fma_f16 v22, v24, s2, v22
	v_pack_b32_f16 v24, v38, v39
	v_pack_b32_f16 v25, v40, v25
	ds_write2_b32 v6, v7, v8 offset0:140 offset1:239
	v_pack_b32_f16 v7, v12, v28
	v_pack_b32_f16 v8, v29, v30
	v_add_u32_e32 v9, 0x800, v95
	ds_write2_b32 v63, v24, v25 offset1:99
	ds_write2_b32 v9, v7, v8 offset0:82 offset1:181
	v_pack_b32_f16 v7, v13, v15
	ds_write_b32 v95, v7 offset:3168
	v_pack_b32_f16 v7, v17, v31
	v_pack_b32_f16 v8, v51, v32
	v_add_u32_e32 v9, 0xc00, v96
	ds_write2_b32 v9, v7, v8 offset0:123 offset1:222
	v_pack_b32_f16 v7, v14, v16
	ds_write_b32 v96, v7 offset:4356
	v_pack_b32_f16 v7, v18, v33
	v_pack_b32_f16 v8, v53, v34
	v_add_u32_e32 v9, 0x1200, v97
	v_add_f16_e32 v23, v23, v37
	ds_write2_b32 v9, v7, v8 offset0:36 offset1:135
	v_pack_b32_f16 v7, v19, v21
	ds_write_b32 v97, v7 offset:5544
	v_pack_b32_f16 v7, v23, v35
	v_pack_b32_f16 v8, v54, v36
	v_add_u32_e32 v9, 0x1600, v98
	ds_write2_b32 v9, v7, v8 offset0:77 offset1:176
	v_pack_b32_f16 v7, v20, v22
	ds_write_b32 v98, v7 offset:6732
	s_waitcnt lgkmcnt(0)
	s_barrier
	ds_read2_b32 v[7:8], v63 offset1:99
	ds_read2_b32 v[9:10], v4 offset0:82 offset1:181
	ds_read2_b32 v[11:12], v47 offset0:36 offset1:135
	;; [unrolled: 1-line block ×8, first 2 shown]
	s_waitcnt lgkmcnt(8)
	v_lshrrev_b32_e32 v25, 16, v7
	s_waitcnt lgkmcnt(7)
	v_lshrrev_b32_e32 v26, 16, v9
	v_mul_f16_sdwa v53, v41, v26 dst_sel:DWORD dst_unused:UNUSED_PAD src0_sel:WORD_1 src1_sel:DWORD
	s_waitcnt lgkmcnt(6)
	v_lshrrev_b32_e32 v27, 16, v11
	v_fma_f16 v53, v41, v9, v53
	v_mul_f16_sdwa v9, v41, v9 dst_sel:DWORD dst_unused:UNUSED_PAD src0_sel:WORD_1 src1_sel:DWORD
	v_fma_f16 v9, v41, v26, -v9
	v_mul_f16_sdwa v26, v42, v27 dst_sel:DWORD dst_unused:UNUSED_PAD src0_sel:WORD_1 src1_sel:DWORD
	v_lshrrev_b32_e32 v29, 16, v10
	v_fma_f16 v26, v42, v11, v26
	v_mul_f16_sdwa v11, v42, v11 dst_sel:DWORD dst_unused:UNUSED_PAD src0_sel:WORD_1 src1_sel:DWORD
	v_fma_f16 v11, v42, v27, -v11
	v_mul_f16_sdwa v27, v43, v29 dst_sel:DWORD dst_unused:UNUSED_PAD src0_sel:WORD_1 src1_sel:DWORD
	;; [unrolled: 5-line block ×3, first 2 shown]
	s_waitcnt lgkmcnt(4)
	v_lshrrev_b32_e32 v32, 16, v15
	v_fma_f16 v29, v44, v12, v29
	v_mul_f16_sdwa v12, v44, v12 dst_sel:DWORD dst_unused:UNUSED_PAD src0_sel:WORD_1 src1_sel:DWORD
	v_fma_f16 v12, v44, v30, -v12
	v_mul_f16_sdwa v30, v45, v32 dst_sel:DWORD dst_unused:UNUSED_PAD src0_sel:WORD_1 src1_sel:DWORD
	s_waitcnt lgkmcnt(3)
	v_lshrrev_b32_e32 v33, 16, v17
	v_fma_f16 v30, v45, v15, v30
	v_mul_f16_sdwa v15, v45, v15 dst_sel:DWORD dst_unused:UNUSED_PAD src0_sel:WORD_1 src1_sel:DWORD
	v_fma_f16 v15, v45, v32, -v15
	v_mul_f16_sdwa v32, v46, v33 dst_sel:DWORD dst_unused:UNUSED_PAD src0_sel:WORD_1 src1_sel:DWORD
	v_lshrrev_b32_e32 v35, 16, v16
	v_fma_f16 v32, v46, v17, v32
	v_mul_f16_sdwa v17, v46, v17 dst_sel:DWORD dst_unused:UNUSED_PAD src0_sel:WORD_1 src1_sel:DWORD
	v_fma_f16 v17, v46, v33, -v17
	v_mul_f16_sdwa v33, v41, v35 dst_sel:DWORD dst_unused:UNUSED_PAD src0_sel:WORD_1 src1_sel:DWORD
	;; [unrolled: 5-line block ×3, first 2 shown]
	s_waitcnt lgkmcnt(1)
	v_lshrrev_b32_e32 v38, 16, v21
	v_fma_f16 v35, v42, v18, v35
	v_mul_f16_sdwa v18, v42, v18 dst_sel:DWORD dst_unused:UNUSED_PAD src0_sel:WORD_1 src1_sel:DWORD
	v_fma_f16 v18, v42, v36, -v18
	v_mul_f16_sdwa v36, v43, v38 dst_sel:DWORD dst_unused:UNUSED_PAD src0_sel:WORD_1 src1_sel:DWORD
	s_waitcnt lgkmcnt(0)
	v_lshrrev_b32_e32 v39, 16, v23
	v_fma_f16 v36, v43, v21, v36
	v_mul_f16_sdwa v21, v43, v21 dst_sel:DWORD dst_unused:UNUSED_PAD src0_sel:WORD_1 src1_sel:DWORD
	v_fma_f16 v21, v43, v38, -v21
	v_mul_f16_sdwa v38, v44, v39 dst_sel:DWORD dst_unused:UNUSED_PAD src0_sel:WORD_1 src1_sel:DWORD
	v_add_f16_e32 v43, v53, v26
	v_fma_f16 v38, v44, v23, v38
	v_mul_f16_sdwa v23, v44, v23 dst_sel:DWORD dst_unused:UNUSED_PAD src0_sel:WORD_1 src1_sel:DWORD
	v_add_f16_e32 v42, v7, v53
	v_fma_f16 v7, v43, -0.5, v7
	v_sub_f16_e32 v43, v9, v11
	v_lshrrev_b32_e32 v51, 16, v22
	v_fma_f16 v23, v44, v39, -v23
	v_fma_f16 v44, v43, s2, v7
	v_fma_f16 v7, v43, s3, v7
	v_add_f16_e32 v43, v25, v9
	v_add_f16_e32 v9, v9, v11
	v_mul_f16_sdwa v39, v45, v51 dst_sel:DWORD dst_unused:UNUSED_PAD src0_sel:WORD_1 src1_sel:DWORD
	v_add_f16_e32 v42, v42, v26
	v_add_f16_e32 v43, v43, v11
	v_fma_f16 v9, v9, -0.5, v25
	v_sub_f16_e32 v11, v53, v26
	v_add_f16_e32 v26, v27, v29
	v_lshrrev_b32_e32 v28, 16, v8
	v_fma_f16 v39, v45, v22, v39
	v_mul_f16_sdwa v22, v45, v22 dst_sel:DWORD dst_unused:UNUSED_PAD src0_sel:WORD_1 src1_sel:DWORD
	v_fma_f16 v25, v11, s3, v9
	v_fma_f16 v9, v11, s2, v9
	v_add_f16_e32 v11, v8, v27
	v_fma_f16 v8, v26, -0.5, v8
	v_sub_f16_e32 v26, v10, v12
	v_fma_f16 v22, v45, v51, -v22
	v_fma_f16 v45, v26, s2, v8
	v_fma_f16 v8, v26, s3, v8
	v_add_f16_e32 v26, v28, v10
	v_add_f16_e32 v10, v10, v12
	;; [unrolled: 1-line block ×3, first 2 shown]
	v_fma_f16 v10, v10, -0.5, v28
	v_sub_f16_e32 v12, v27, v29
	v_add_f16_e32 v28, v30, v32
	v_lshrrev_b32_e32 v31, 16, v13
	v_fma_f16 v27, v12, s3, v10
	v_fma_f16 v10, v12, s2, v10
	v_add_f16_e32 v12, v13, v30
	v_fma_f16 v13, v28, -0.5, v13
	v_sub_f16_e32 v28, v15, v17
	v_add_f16_e32 v11, v11, v29
	v_fma_f16 v29, v28, s2, v13
	v_fma_f16 v13, v28, s3, v13
	v_add_f16_e32 v28, v31, v15
	v_add_f16_e32 v15, v15, v17
	;; [unrolled: 1-line block ×3, first 2 shown]
	v_fma_f16 v15, v15, -0.5, v31
	v_sub_f16_e32 v17, v30, v32
	v_add_f16_e32 v31, v33, v35
	v_lshrrev_b32_e32 v34, 16, v14
	v_fma_f16 v30, v17, s3, v15
	v_fma_f16 v15, v17, s2, v15
	v_add_f16_e32 v17, v14, v33
	v_fma_f16 v14, v31, -0.5, v14
	v_sub_f16_e32 v31, v16, v18
	v_add_f16_e32 v12, v12, v32
	v_fma_f16 v32, v31, s2, v14
	v_fma_f16 v14, v31, s3, v14
	v_add_f16_e32 v31, v34, v16
	v_add_f16_e32 v16, v16, v18
	v_lshrrev_b32_e32 v52, 16, v24
	v_add_f16_e32 v31, v31, v18
	v_fma_f16 v16, v16, -0.5, v34
	v_sub_f16_e32 v18, v33, v35
	v_add_f16_e32 v34, v36, v38
	v_lshrrev_b32_e32 v37, 16, v19
	v_mul_f16_sdwa v41, v46, v52 dst_sel:DWORD dst_unused:UNUSED_PAD src0_sel:WORD_1 src1_sel:DWORD
	v_fma_f16 v33, v18, s3, v16
	v_fma_f16 v16, v18, s2, v16
	v_add_f16_e32 v18, v19, v36
	v_fma_f16 v19, v34, -0.5, v19
	v_sub_f16_e32 v34, v21, v23
	v_fma_f16 v41, v46, v24, v41
	v_mul_f16_sdwa v24, v46, v24 dst_sel:DWORD dst_unused:UNUSED_PAD src0_sel:WORD_1 src1_sel:DWORD
	v_add_f16_e32 v17, v17, v35
	v_fma_f16 v35, v34, s2, v19
	v_fma_f16 v19, v34, s3, v19
	v_add_f16_e32 v34, v37, v21
	v_add_f16_e32 v21, v21, v23
	v_fma_f16 v24, v46, v52, -v24
	v_add_f16_e32 v34, v34, v23
	v_fma_f16 v21, v21, -0.5, v37
	v_sub_f16_e32 v23, v36, v38
	v_add_f16_e32 v37, v39, v41
	v_lshrrev_b32_e32 v40, 16, v20
	v_fma_f16 v36, v23, s3, v21
	v_fma_f16 v21, v23, s2, v21
	v_add_f16_e32 v23, v20, v39
	v_fma_f16 v20, v37, -0.5, v20
	v_sub_f16_e32 v37, v22, v24
	v_add_f16_e32 v18, v18, v38
	v_fma_f16 v38, v37, s2, v20
	v_fma_f16 v20, v37, s3, v20
	v_add_f16_e32 v37, v40, v22
	v_add_f16_e32 v22, v22, v24
	v_add_f16_e32 v37, v37, v24
	v_fma_f16 v22, v22, -0.5, v40
	v_sub_f16_e32 v24, v39, v41
	v_pack_b32_f16 v7, v7, v9
	v_pack_b32_f16 v8, v8, v10
	v_fma_f16 v39, v24, s3, v22
	v_fma_f16 v22, v24, s2, v22
	s_barrier
	v_pack_b32_f16 v24, v42, v43
	v_pack_b32_f16 v25, v44, v25
	;; [unrolled: 1-line block ×3, first 2 shown]
	ds_write2_b32 v4, v7, v8 offset0:82 offset1:181
	v_pack_b32_f16 v7, v12, v28
	ds_write2_b32 v63, v24, v9 offset1:99
	v_pack_b32_f16 v9, v45, v27
	ds_write2_b32 v49, v7, v25 offset0:70 offset1:169
	v_pack_b32_f16 v7, v29, v30
	ds_write2_b32 v6, v9, v7 offset0:140 offset1:239
	v_pack_b32_f16 v7, v13, v15
	v_pack_b32_f16 v8, v17, v31
	v_add_f16_e32 v23, v23, v41
	ds_write2_b32 v48, v7, v8 offset0:24 offset1:123
	v_pack_b32_f16 v7, v32, v33
	v_pack_b32_f16 v10, v35, v36
	;; [unrolled: 1-line block ×3, first 2 shown]
	ds_write2_b32 v47, v7, v10 offset0:36 offset1:135
	v_pack_b32_f16 v10, v23, v37
	v_pack_b32_f16 v8, v14, v16
	ds_write2_b32 v5, v9, v10 offset0:94 offset1:193
	v_pack_b32_f16 v9, v38, v39
	v_pack_b32_f16 v7, v19, v21
	ds_write2_b32 v3, v9, v8 offset0:106 offset1:205
	v_pack_b32_f16 v8, v20, v22
	ds_write2_b32 v50, v7, v8 offset0:48 offset1:147
	s_waitcnt lgkmcnt(0)
	s_barrier
	ds_read2_b32 v[7:8], v63 offset1:99
	ds_read2_b32 v[9:10], v48 offset0:24 offset1:123
	ds_read2_b32 v[11:12], v5 offset0:94 offset1:193
	;; [unrolled: 1-line block ×7, first 2 shown]
	s_waitcnt lgkmcnt(6)
	v_lshrrev_b32_e32 v26, 16, v10
	v_mul_f16_sdwa v43, v99, v26 dst_sel:DWORD dst_unused:UNUSED_PAD src0_sel:WORD_1 src1_sel:DWORD
	s_waitcnt lgkmcnt(5)
	v_lshrrev_b32_e32 v28, 16, v11
	v_fma_f16 v43, v99, v10, v43
	v_mul_f16_sdwa v10, v99, v10 dst_sel:DWORD dst_unused:UNUSED_PAD src0_sel:WORD_1 src1_sel:DWORD
	v_fma_f16 v10, v99, v26, -v10
	v_mul_f16_sdwa v26, v100, v28 dst_sel:DWORD dst_unused:UNUSED_PAD src0_sel:WORD_1 src1_sel:DWORD
	v_lshrrev_b32_e32 v30, 16, v12
	v_fma_f16 v26, v100, v11, v26
	v_mul_f16_sdwa v11, v100, v11 dst_sel:DWORD dst_unused:UNUSED_PAD src0_sel:WORD_1 src1_sel:DWORD
	v_fma_f16 v11, v100, v28, -v11
	v_mul_f16_sdwa v28, v101, v30 dst_sel:DWORD dst_unused:UNUSED_PAD src0_sel:WORD_1 src1_sel:DWORD
	s_waitcnt lgkmcnt(3)
	v_lshrrev_b32_e32 v32, 16, v15
	v_fma_f16 v28, v101, v12, v28
	v_mul_f16_sdwa v12, v101, v12 dst_sel:DWORD dst_unused:UNUSED_PAD src0_sel:WORD_1 src1_sel:DWORD
	v_fma_f16 v12, v101, v30, -v12
	v_mul_f16_sdwa v30, v102, v32 dst_sel:DWORD dst_unused:UNUSED_PAD src0_sel:WORD_1 src1_sel:DWORD
	v_lshrrev_b32_e32 v34, 16, v16
	v_fma_f16 v30, v102, v15, v30
	v_mul_f16_sdwa v15, v102, v15 dst_sel:DWORD dst_unused:UNUSED_PAD src0_sel:WORD_1 src1_sel:DWORD
	ds_read2_b32 v[23:24], v50 offset0:48 offset1:147
	v_fma_f16 v15, v102, v32, -v15
	v_mul_f16_sdwa v32, v103, v34 dst_sel:DWORD dst_unused:UNUSED_PAD src0_sel:WORD_1 src1_sel:DWORD
	s_waitcnt lgkmcnt(2)
	v_lshrrev_b32_e32 v36, 16, v19
	v_fma_f16 v32, v103, v16, v32
	v_mul_f16_sdwa v16, v103, v16 dst_sel:DWORD dst_unused:UNUSED_PAD src0_sel:WORD_1 src1_sel:DWORD
	v_fma_f16 v16, v103, v34, -v16
	v_mul_f16_sdwa v34, v104, v36 dst_sel:DWORD dst_unused:UNUSED_PAD src0_sel:WORD_1 src1_sel:DWORD
	v_lshrrev_b32_e32 v38, 16, v20
	v_fma_f16 v34, v104, v19, v34
	v_mul_f16_sdwa v19, v104, v19 dst_sel:DWORD dst_unused:UNUSED_PAD src0_sel:WORD_1 src1_sel:DWORD
	v_fma_f16 v19, v104, v36, -v19
	v_mul_f16_sdwa v36, v105, v38 dst_sel:DWORD dst_unused:UNUSED_PAD src0_sel:WORD_1 src1_sel:DWORD
	s_waitcnt lgkmcnt(0)
	v_lshrrev_b32_e32 v40, 16, v23
	v_fma_f16 v36, v105, v20, v36
	v_mul_f16_sdwa v20, v105, v20 dst_sel:DWORD dst_unused:UNUSED_PAD src0_sel:WORD_1 src1_sel:DWORD
	v_fma_f16 v20, v105, v38, -v20
	v_mul_f16_sdwa v38, v106, v40 dst_sel:DWORD dst_unused:UNUSED_PAD src0_sel:WORD_1 src1_sel:DWORD
	v_lshrrev_b32_e32 v42, 16, v24
	v_fma_f16 v38, v106, v23, v38
	v_mul_f16_sdwa v23, v106, v23 dst_sel:DWORD dst_unused:UNUSED_PAD src0_sel:WORD_1 src1_sel:DWORD
	v_fma_f16 v23, v106, v40, -v23
	v_mul_f16_sdwa v40, v107, v42 dst_sel:DWORD dst_unused:UNUSED_PAD src0_sel:WORD_1 src1_sel:DWORD
	v_lshrrev_b32_e32 v25, 16, v7
	v_lshrrev_b32_e32 v27, 16, v8
	v_fma_f16 v40, v107, v24, v40
	v_mul_f16_sdwa v24, v107, v24 dst_sel:DWORD dst_unused:UNUSED_PAD src0_sel:WORD_1 src1_sel:DWORD
	v_fma_f16 v24, v107, v42, -v24
	v_sub_f16_e32 v42, v7, v43
	v_sub_f16_e32 v10, v25, v10
	;; [unrolled: 1-line block ×4, first 2 shown]
	v_lshrrev_b32_e32 v29, 16, v13
	v_lshrrev_b32_e32 v31, 16, v14
	v_fma_f16 v7, v7, 2.0, -v42
	v_fma_f16 v25, v25, 2.0, -v10
	;; [unrolled: 1-line block ×4, first 2 shown]
	v_sub_f16_e32 v28, v13, v28
	v_sub_f16_e32 v12, v29, v12
	;; [unrolled: 1-line block ×4, first 2 shown]
	v_pack_b32_f16 v7, v7, v25
	v_pack_b32_f16 v8, v8, v27
	v_lshrrev_b32_e32 v33, 16, v17
	v_lshrrev_b32_e32 v35, 16, v18
	v_fma_f16 v13, v13, 2.0, -v28
	v_fma_f16 v29, v29, 2.0, -v12
	;; [unrolled: 1-line block ×4, first 2 shown]
	ds_write2_b32 v63, v7, v8 offset1:99
	v_pack_b32_f16 v7, v26, v11
	v_pack_b32_f16 v11, v28, v12
	v_sub_f16_e32 v32, v17, v32
	v_sub_f16_e32 v16, v33, v16
	;; [unrolled: 1-line block ×4, first 2 shown]
	v_pack_b32_f16 v8, v13, v29
	ds_write2_b32 v5, v7, v11 offset0:94 offset1:193
	v_pack_b32_f16 v7, v14, v31
	v_lshrrev_b32_e32 v37, 16, v21
	v_lshrrev_b32_e32 v39, 16, v22
	v_fma_f16 v17, v17, 2.0, -v32
	v_fma_f16 v33, v33, 2.0, -v16
	;; [unrolled: 1-line block ×4, first 2 shown]
	ds_write2_b32 v49, v8, v7 offset0:70 offset1:169
	v_pack_b32_f16 v7, v30, v15
	v_pack_b32_f16 v11, v32, v16
	v_lshrrev_b32_e32 v41, 16, v9
	v_sub_f16_e32 v36, v21, v36
	v_sub_f16_e32 v20, v37, v20
	;; [unrolled: 1-line block ×4, first 2 shown]
	v_pack_b32_f16 v8, v17, v33
	ds_write2_b32 v47, v7, v11 offset0:36 offset1:135
	v_pack_b32_f16 v7, v18, v35
	v_fma_f16 v21, v21, 2.0, -v36
	v_fma_f16 v37, v37, 2.0, -v20
	;; [unrolled: 1-line block ×4, first 2 shown]
	v_sub_f16_e32 v40, v9, v40
	v_sub_f16_e32 v24, v41, v24
	ds_write2_b32 v6, v8, v7 offset0:140 offset1:239
	v_pack_b32_f16 v7, v34, v19
	v_pack_b32_f16 v11, v36, v20
	v_fma_f16 v9, v9, 2.0, -v40
	v_fma_f16 v41, v41, 2.0, -v24
	v_pack_b32_f16 v8, v21, v37
	ds_write2_b32 v3, v7, v11 offset0:106 offset1:205
	v_pack_b32_f16 v7, v22, v39
	v_pack_b32_f16 v10, v42, v10
	ds_write2_b32 v4, v8, v7 offset0:82 offset1:181
	v_pack_b32_f16 v7, v9, v41
	;; [unrolled: 3-line block ×3, first 2 shown]
	ds_write2_b32 v50, v4, v7 offset0:48 offset1:147
	s_waitcnt lgkmcnt(0)
	s_barrier
	ds_read2_b32 v[7:8], v63 offset1:162
	s_mov_b32 s12, 0x7210aa18
	s_mov_b32 s13, 0x3f426369
	v_mad_u64_u32 v[9:10], s[2:3], s10, v2, 0
	s_waitcnt lgkmcnt(0)
	v_lshrrev_b32_e32 v15, 16, v7
	v_mul_f16_sdwa v4, v75, v15 dst_sel:DWORD dst_unused:UNUSED_PAD src0_sel:WORD_1 src1_sel:DWORD
	v_fma_f16 v4, v75, v7, v4
	v_cvt_f32_f16_e32 v4, v4
	s_movk_i32 s15, 0x1ff
	s_movk_i32 s10, 0xffe
	v_mul_f16_sdwa v7, v75, v7 dst_sel:DWORD dst_unused:UNUSED_PAD src0_sel:WORD_1 src1_sel:DWORD
	v_cvt_f64_f32_e32 v[11:12], v4
	v_mov_b32_e32 v4, v10
	v_mad_u64_u32 v[13:14], s[2:3], s11, v2, v[4:5]
	v_mul_f64 v[11:12], v[11:12], s[12:13]
	v_fma_f16 v7, v75, v15, -v7
	v_mov_b32_e32 v10, v13
	v_cvt_f32_f16_e32 v7, v7
	s_movk_i32 s11, 0x40f
	s_mov_b32 s14, 0x8000
	v_lshlrev_b64 v[9:10], 2, v[9:10]
	s_movk_i32 s16, 0x1000
	v_and_or_b32 v2, v12, s15, v11
	v_cmp_ne_u32_e32 vcc, 0, v2
	v_cndmask_b32_e64 v2, 0, 1, vcc
	v_lshrrev_b32_e32 v4, 8, v12
	v_bfe_u32 v11, v12, 20, 11
	v_and_or_b32 v2, v4, s10, v2
	v_sub_u32_e32 v13, 0x3f1, v11
	v_or_b32_e32 v4, 0x1000, v2
	v_med3_i32 v13, v13, 0, 13
	v_lshrrev_b32_e32 v14, v13, v4
	v_lshlrev_b32_e32 v13, v13, v14
	v_cmp_ne_u32_e32 vcc, v13, v4
	v_cndmask_b32_e64 v4, 0, 1, vcc
	v_add_u32_e32 v11, 0xfffffc10, v11
	v_or_b32_e32 v4, v14, v4
	v_lshl_or_b32 v13, v11, 12, v2
	v_cmp_gt_i32_e32 vcc, 1, v11
	v_cndmask_b32_e32 v4, v13, v4, vcc
	v_and_b32_e32 v13, 7, v4
	v_cmp_lt_i32_e32 vcc, 5, v13
	v_cmp_eq_u32_e64 s[2:3], 3, v13
	v_cvt_f64_f32_e32 v[13:14], v7
	v_lshrrev_b32_e32 v4, 2, v4
	s_or_b64 vcc, s[2:3], vcc
	v_addc_co_u32_e32 v15, vcc, 0, v4, vcc
	v_mul_f64 v[13:14], v[13:14], s[12:13]
	v_mov_b32_e32 v4, 0x7c00
	v_cmp_gt_i32_e32 vcc, 31, v11
	v_cndmask_b32_e32 v7, v4, v15, vcc
	v_cmp_ne_u32_e32 vcc, 0, v2
	v_cndmask_b32_e64 v2, 0, 1, vcc
	v_lshl_or_b32 v2, v2, 9, v4
	v_cmp_eq_u32_e32 vcc, s11, v11
	v_cndmask_b32_e32 v2, v7, v2, vcc
	v_lshrrev_b32_e32 v7, 16, v12
	v_and_or_b32 v7, v7, s14, v2
	v_and_or_b32 v2, v14, s15, v13
	v_cmp_ne_u32_e32 vcc, 0, v2
	v_cndmask_b32_e64 v2, 0, 1, vcc
	v_lshrrev_b32_e32 v11, 8, v14
	v_bfe_u32 v12, v14, 20, 11
	v_and_or_b32 v2, v11, s10, v2
	v_sub_u32_e32 v13, 0x3f1, v12
	v_or_b32_e32 v11, 0x1000, v2
	v_med3_i32 v13, v13, 0, 13
	v_lshrrev_b32_e32 v15, v13, v11
	v_lshlrev_b32_e32 v13, v13, v15
	v_cmp_ne_u32_e32 vcc, v13, v11
	v_cndmask_b32_e64 v11, 0, 1, vcc
	v_add_u32_e32 v13, 0xfffffc10, v12
	v_or_b32_e32 v11, v15, v11
	v_lshl_or_b32 v12, v13, 12, v2
	v_cmp_gt_i32_e32 vcc, 1, v13
	v_cndmask_b32_e32 v11, v12, v11, vcc
	v_and_b32_e32 v12, 7, v11
	v_cmp_lt_i32_e32 vcc, 5, v12
	v_cmp_eq_u32_e64 s[2:3], 3, v12
	v_lshrrev_b32_e32 v11, 2, v11
	s_or_b64 vcc, s[2:3], vcc
	v_addc_co_u32_e32 v11, vcc, 0, v11, vcc
	v_cmp_gt_i32_e32 vcc, 31, v13
	v_cndmask_b32_e32 v15, v4, v11, vcc
	v_mad_u64_u32 v[11:12], s[2:3], s8, v74, 0
	v_cmp_ne_u32_e32 vcc, 0, v2
	v_cndmask_b32_e64 v2, 0, 1, vcc
	v_lshl_or_b32 v2, v2, 9, v4
	v_cmp_eq_u32_e32 vcc, s11, v13
	v_cndmask_b32_e32 v15, v15, v2, vcc
	v_mov_b32_e32 v2, v12
	v_mad_u64_u32 v[12:13], s[2:3], s9, v74, v[2:3]
	v_lshrrev_b32_e32 v2, 16, v8
	v_mul_f16_sdwa v13, v73, v2 dst_sel:DWORD dst_unused:UNUSED_PAD src0_sel:WORD_1 src1_sel:DWORD
	v_fma_f16 v13, v73, v8, v13
	v_cvt_f32_f16_e32 v13, v13
	v_lshrrev_b32_e32 v14, 16, v14
	v_and_or_b32 v15, v14, s14, v15
	v_and_b32_e32 v7, 0xffff, v7
	v_cvt_f64_f32_e32 v[13:14], v13
	v_lshl_or_b32 v7, v15, 16, v7
	v_mov_b32_e32 v15, s7
	v_add_co_u32_e32 v16, vcc, s6, v9
	v_mul_f64 v[13:14], v[13:14], s[12:13]
	v_addc_co_u32_e32 v15, vcc, v15, v10, vcc
	v_lshlrev_b64 v[9:10], 2, v[11:12]
	v_mul_f16_sdwa v8, v73, v8 dst_sel:DWORD dst_unused:UNUSED_PAD src0_sel:WORD_1 src1_sel:DWORD
	v_add_co_u32_e32 v9, vcc, v16, v9
	v_addc_co_u32_e32 v10, vcc, v15, v10, vcc
	global_store_dword v[9:10], v7, off
	v_and_or_b32 v7, v14, s15, v13
	v_cmp_ne_u32_e32 vcc, 0, v7
	v_cndmask_b32_e64 v7, 0, 1, vcc
	v_lshrrev_b32_e32 v11, 8, v14
	v_bfe_u32 v12, v14, 20, 11
	v_and_or_b32 v11, v11, s10, v7
	v_sub_u32_e32 v13, 0x3f1, v12
	v_or_b32_e32 v7, 0x1000, v11
	v_med3_i32 v13, v13, 0, 13
	v_lshrrev_b32_e32 v15, v13, v7
	v_lshlrev_b32_e32 v13, v13, v15
	v_cmp_ne_u32_e32 vcc, v13, v7
	v_fma_f16 v2, v73, v2, -v8
	v_cndmask_b32_e64 v7, 0, 1, vcc
	v_add_u32_e32 v12, 0xfffffc10, v12
	v_cvt_f32_f16_e32 v2, v2
	v_or_b32_e32 v7, v15, v7
	v_lshl_or_b32 v13, v12, 12, v11
	v_cmp_gt_i32_e32 vcc, 1, v12
	v_cndmask_b32_e32 v7, v13, v7, vcc
	v_and_b32_e32 v13, 7, v7
	v_cmp_lt_i32_e32 vcc, 5, v13
	v_cmp_eq_u32_e64 s[2:3], 3, v13
	v_lshrrev_b32_e32 v13, 2, v7
	v_cvt_f64_f32_e32 v[7:8], v2
	s_or_b64 vcc, s[2:3], vcc
	v_addc_co_u32_e32 v2, vcc, 0, v13, vcc
	v_mul_f64 v[7:8], v[7:8], s[12:13]
	v_cmp_gt_i32_e32 vcc, 31, v12
	v_cndmask_b32_e32 v2, v4, v2, vcc
	v_cmp_ne_u32_e32 vcc, 0, v11
	v_cndmask_b32_e64 v11, 0, 1, vcc
	v_lshl_or_b32 v11, v11, 9, v4
	v_cmp_eq_u32_e32 vcc, s11, v12
	v_cndmask_b32_e32 v2, v2, v11, vcc
	v_and_or_b32 v7, v8, s15, v7
	v_lshrrev_b32_e32 v11, 16, v14
	v_cmp_ne_u32_e32 vcc, 0, v7
	v_and_or_b32 v2, v11, s14, v2
	v_cndmask_b32_e64 v7, 0, 1, vcc
	v_lshrrev_b32_e32 v11, 8, v8
	v_bfe_u32 v12, v8, 20, 11
	v_and_or_b32 v7, v11, s10, v7
	v_sub_u32_e32 v13, 0x3f1, v12
	v_or_b32_e32 v11, 0x1000, v7
	v_med3_i32 v13, v13, 0, 13
	v_lshrrev_b32_e32 v14, v13, v11
	v_lshlrev_b32_e32 v13, v13, v14
	v_cmp_ne_u32_e32 vcc, v13, v11
	v_cndmask_b32_e64 v11, 0, 1, vcc
	v_add_u32_e32 v13, 0xfffffc10, v12
	v_or_b32_e32 v11, v14, v11
	v_lshl_or_b32 v12, v13, 12, v7
	v_cmp_gt_i32_e32 vcc, 1, v13
	v_cndmask_b32_e32 v11, v12, v11, vcc
	v_and_b32_e32 v12, 7, v11
	v_cmp_lt_i32_e32 vcc, 5, v12
	v_cmp_eq_u32_e64 s[2:3], 3, v12
	v_lshrrev_b32_e32 v11, 2, v11
	s_or_b64 vcc, s[2:3], vcc
	v_addc_co_u32_e32 v11, vcc, 0, v11, vcc
	v_cmp_gt_i32_e32 vcc, 31, v13
	v_cndmask_b32_e32 v14, v4, v11, vcc
	ds_read2_b32 v[11:12], v6 offset0:68 offset1:230
	v_cmp_ne_u32_e32 vcc, 0, v7
	v_cndmask_b32_e64 v7, 0, 1, vcc
	v_lshl_or_b32 v7, v7, 9, v4
	v_cmp_eq_u32_e32 vcc, s11, v13
	v_cndmask_b32_e32 v6, v14, v7, vcc
	v_lshrrev_b32_e32 v7, 16, v8
	s_waitcnt lgkmcnt(0)
	v_lshrrev_b32_e32 v13, 16, v11
	v_and_or_b32 v8, v7, s14, v6
	v_mul_f16_sdwa v6, v72, v13 dst_sel:DWORD dst_unused:UNUSED_PAD src0_sel:WORD_1 src1_sel:DWORD
	v_fma_f16 v6, v72, v11, v6
	v_cvt_f32_f16_e32 v6, v6
	v_and_b32_e32 v2, 0xffff, v2
	v_lshl_or_b32 v2, v8, 16, v2
	s_mul_i32 s2, s9, 0xa2
	v_cvt_f64_f32_e32 v[6:7], v6
	s_mul_hi_u32 s3, s8, 0xa2
	s_add_i32 s3, s3, s2
	s_mul_i32 s2, s8, 0xa2
	v_mul_f64 v[7:8], v[6:7], s[12:13]
	s_lshl_b64 s[6:7], s[2:3], 2
	v_mov_b32_e32 v6, s7
	v_add_co_u32_e32 v9, vcc, s6, v9
	v_addc_co_u32_e32 v10, vcc, v10, v6, vcc
	global_store_dword v[9:10], v2, off
	v_and_or_b32 v2, v8, s15, v7
	v_cmp_ne_u32_e32 vcc, 0, v2
	v_cndmask_b32_e64 v2, 0, 1, vcc
	v_lshrrev_b32_e32 v7, 8, v8
	v_bfe_u32 v14, v8, 20, 11
	v_and_or_b32 v2, v7, s10, v2
	v_sub_u32_e32 v15, 0x3f1, v14
	v_or_b32_e32 v7, 0x1000, v2
	v_med3_i32 v15, v15, 0, 13
	v_lshrrev_b32_e32 v16, v15, v7
	v_lshlrev_b32_e32 v15, v15, v16
	v_mul_f16_sdwa v11, v72, v11 dst_sel:DWORD dst_unused:UNUSED_PAD src0_sel:WORD_1 src1_sel:DWORD
	v_cmp_ne_u32_e32 vcc, v15, v7
	v_fma_f16 v11, v72, v13, -v11
	v_cndmask_b32_e64 v7, 0, 1, vcc
	v_add_u32_e32 v15, 0xfffffc10, v14
	v_cvt_f32_f16_e32 v11, v11
	v_or_b32_e32 v7, v16, v7
	v_lshl_or_b32 v14, v15, 12, v2
	v_cmp_gt_i32_e32 vcc, 1, v15
	v_cndmask_b32_e32 v7, v14, v7, vcc
	v_and_b32_e32 v14, 7, v7
	v_cmp_lt_i32_e32 vcc, 5, v14
	v_cmp_eq_u32_e64 s[2:3], 3, v14
	v_cvt_f64_f32_e32 v[13:14], v11
	v_lshrrev_b32_e32 v7, 2, v7
	s_or_b64 vcc, s[2:3], vcc
	v_addc_co_u32_e32 v7, vcc, 0, v7, vcc
	v_mul_f64 v[13:14], v[13:14], s[12:13]
	v_cmp_gt_i32_e32 vcc, 31, v15
	v_cndmask_b32_e32 v7, v4, v7, vcc
	v_cmp_ne_u32_e32 vcc, 0, v2
	v_cndmask_b32_e64 v2, 0, 1, vcc
	v_lshl_or_b32 v2, v2, 9, v4
	v_cmp_eq_u32_e32 vcc, s11, v15
	v_cndmask_b32_e32 v2, v7, v2, vcc
	v_lshrrev_b32_e32 v7, 16, v8
	v_and_or_b32 v2, v7, s14, v2
	v_and_or_b32 v7, v14, s15, v13
	v_cmp_ne_u32_e32 vcc, 0, v7
	v_cndmask_b32_e64 v7, 0, 1, vcc
	v_lshrrev_b32_e32 v8, 8, v14
	v_bfe_u32 v11, v14, 20, 11
	v_and_or_b32 v7, v8, s10, v7
	v_sub_u32_e32 v13, 0x3f1, v11
	v_or_b32_e32 v8, 0x1000, v7
	v_med3_i32 v13, v13, 0, 13
	v_lshrrev_b32_e32 v15, v13, v8
	v_lshlrev_b32_e32 v13, v13, v15
	v_cmp_ne_u32_e32 vcc, v13, v8
	v_cndmask_b32_e64 v8, 0, 1, vcc
	v_add_u32_e32 v11, 0xfffffc10, v11
	v_or_b32_e32 v8, v15, v8
	v_lshl_or_b32 v13, v11, 12, v7
	v_cmp_gt_i32_e32 vcc, 1, v11
	v_cndmask_b32_e32 v8, v13, v8, vcc
	v_and_b32_e32 v13, 7, v8
	v_cmp_lt_i32_e32 vcc, 5, v13
	v_cmp_eq_u32_e64 s[2:3], 3, v13
	v_lshrrev_b32_e32 v8, 2, v8
	s_or_b64 vcc, s[2:3], vcc
	v_addc_co_u32_e32 v8, vcc, 0, v8, vcc
	v_cmp_gt_i32_e32 vcc, 31, v11
	v_lshrrev_b32_e32 v15, 16, v12
	v_cndmask_b32_e32 v13, v4, v8, vcc
	v_mul_f16_sdwa v8, v71, v15 dst_sel:DWORD dst_unused:UNUSED_PAD src0_sel:WORD_1 src1_sel:DWORD
	v_fma_f16 v8, v71, v12, v8
	v_cvt_f32_f16_e32 v8, v8
	v_cmp_ne_u32_e32 vcc, 0, v7
	v_cndmask_b32_e64 v7, 0, 1, vcc
	v_lshl_or_b32 v16, v7, 9, v4
	v_cvt_f64_f32_e32 v[7:8], v8
	v_cmp_eq_u32_e32 vcc, s11, v11
	v_cndmask_b32_e32 v11, v13, v16, vcc
	v_lshrrev_b32_e32 v13, 16, v14
	v_mul_f64 v[7:8], v[7:8], s[12:13]
	v_and_or_b32 v11, v13, s14, v11
	v_and_b32_e32 v2, 0xffff, v2
	v_add_co_u32_e32 v9, vcc, s6, v9
	v_lshl_or_b32 v2, v11, 16, v2
	v_addc_co_u32_e32 v10, vcc, v10, v6, vcc
	global_store_dword v[9:10], v2, off
	v_and_or_b32 v2, v8, s15, v7
	v_cmp_ne_u32_e32 vcc, 0, v2
	v_cndmask_b32_e64 v2, 0, 1, vcc
	v_lshrrev_b32_e32 v7, 8, v8
	v_bfe_u32 v11, v8, 20, 11
	v_and_or_b32 v2, v7, s10, v2
	v_sub_u32_e32 v13, 0x3f1, v11
	v_or_b32_e32 v7, 0x1000, v2
	v_med3_i32 v13, v13, 0, 13
	v_lshrrev_b32_e32 v14, v13, v7
	v_lshlrev_b32_e32 v13, v13, v14
	v_mul_f16_sdwa v12, v71, v12 dst_sel:DWORD dst_unused:UNUSED_PAD src0_sel:WORD_1 src1_sel:DWORD
	v_cmp_ne_u32_e32 vcc, v13, v7
	v_fma_f16 v12, v71, v15, -v12
	v_cndmask_b32_e64 v7, 0, 1, vcc
	v_add_u32_e32 v13, 0xfffffc10, v11
	v_cvt_f32_f16_e32 v12, v12
	v_or_b32_e32 v7, v14, v7
	v_lshl_or_b32 v11, v13, 12, v2
	v_cmp_gt_i32_e32 vcc, 1, v13
	v_cndmask_b32_e32 v7, v11, v7, vcc
	v_and_b32_e32 v11, 7, v7
	v_cmp_lt_i32_e32 vcc, 5, v11
	v_cmp_eq_u32_e64 s[2:3], 3, v11
	v_cvt_f64_f32_e32 v[11:12], v12
	v_lshrrev_b32_e32 v7, 2, v7
	s_or_b64 vcc, s[2:3], vcc
	v_addc_co_u32_e32 v7, vcc, 0, v7, vcc
	v_mul_f64 v[11:12], v[11:12], s[12:13]
	v_cmp_gt_i32_e32 vcc, 31, v13
	v_cndmask_b32_e32 v7, v4, v7, vcc
	v_cmp_ne_u32_e32 vcc, 0, v2
	v_cndmask_b32_e64 v2, 0, 1, vcc
	v_lshl_or_b32 v2, v2, 9, v4
	v_cmp_eq_u32_e32 vcc, s11, v13
	v_cndmask_b32_e32 v2, v7, v2, vcc
	v_lshrrev_b32_e32 v7, 16, v8
	v_and_or_b32 v2, v7, s14, v2
	v_and_or_b32 v7, v12, s15, v11
	v_cmp_ne_u32_e32 vcc, 0, v7
	v_cndmask_b32_e64 v7, 0, 1, vcc
	v_lshrrev_b32_e32 v8, 8, v12
	v_and_or_b32 v11, v8, s10, v7
	v_bfe_u32 v8, v12, 20, 11
	v_sub_u32_e32 v13, 0x3f1, v8
	v_or_b32_e32 v7, 0x1000, v11
	v_med3_i32 v13, v13, 0, 13
	v_lshrrev_b32_e32 v14, v13, v7
	v_lshlrev_b32_e32 v13, v13, v14
	v_cmp_ne_u32_e32 vcc, v13, v7
	v_cndmask_b32_e64 v7, 0, 1, vcc
	v_add_u32_e32 v15, 0xfffffc10, v8
	v_or_b32_e32 v7, v14, v7
	v_lshl_or_b32 v8, v15, 12, v11
	v_cmp_gt_i32_e32 vcc, 1, v15
	v_cndmask_b32_e32 v7, v8, v7, vcc
	v_and_b32_e32 v8, 7, v7
	v_lshrrev_b32_e32 v13, 2, v7
	v_add_u32_e32 v7, 0xa00, v63
	v_cmp_lt_i32_e32 vcc, 5, v8
	v_cmp_eq_u32_e64 s[2:3], 3, v8
	ds_read2_b32 v[7:8], v7 offset0:8 offset1:170
	s_or_b64 vcc, s[2:3], vcc
	v_addc_co_u32_e32 v13, vcc, 0, v13, vcc
	v_cmp_gt_i32_e32 vcc, 31, v15
	s_waitcnt lgkmcnt(0)
	v_lshrrev_b32_e32 v17, 16, v7
	v_cndmask_b32_e32 v16, v4, v13, vcc
	v_mul_f16_sdwa v13, v70, v17 dst_sel:DWORD dst_unused:UNUSED_PAD src0_sel:WORD_1 src1_sel:DWORD
	v_fma_f16 v13, v70, v7, v13
	v_cvt_f32_f16_e32 v13, v13
	v_cmp_ne_u32_e32 vcc, 0, v11
	v_cndmask_b32_e64 v11, 0, 1, vcc
	v_lshl_or_b32 v11, v11, 9, v4
	v_cvt_f64_f32_e32 v[13:14], v13
	v_cmp_eq_u32_e32 vcc, s11, v15
	v_cndmask_b32_e32 v11, v16, v11, vcc
	v_lshrrev_b32_e32 v12, 16, v12
	v_and_or_b32 v15, v12, s14, v11
	v_mul_f64 v[11:12], v[13:14], s[12:13]
	v_and_b32_e32 v2, 0xffff, v2
	v_add_co_u32_e32 v9, vcc, s6, v9
	v_lshl_or_b32 v2, v15, 16, v2
	v_addc_co_u32_e32 v10, vcc, v10, v6, vcc
	global_store_dword v[9:10], v2, off
	v_and_or_b32 v2, v12, s15, v11
	v_cmp_ne_u32_e32 vcc, 0, v2
	v_cndmask_b32_e64 v2, 0, 1, vcc
	v_lshrrev_b32_e32 v11, 8, v12
	v_bfe_u32 v13, v12, 20, 11
	v_and_or_b32 v2, v11, s10, v2
	v_sub_u32_e32 v14, 0x3f1, v13
	v_or_b32_e32 v11, 0x1000, v2
	v_med3_i32 v14, v14, 0, 13
	v_lshrrev_b32_e32 v15, v14, v11
	v_lshlrev_b32_e32 v14, v14, v15
	v_cmp_ne_u32_e32 vcc, v14, v11
	v_mul_f16_sdwa v7, v70, v7 dst_sel:DWORD dst_unused:UNUSED_PAD src0_sel:WORD_1 src1_sel:DWORD
	v_cndmask_b32_e64 v11, 0, 1, vcc
	v_fma_f16 v7, v70, v17, -v7
	v_or_b32_e32 v11, v15, v11
	v_add_u32_e32 v15, 0xfffffc10, v13
	v_cvt_f32_f16_e32 v7, v7
	v_lshl_or_b32 v13, v15, 12, v2
	v_cmp_gt_i32_e32 vcc, 1, v15
	v_cndmask_b32_e32 v11, v13, v11, vcc
	v_and_b32_e32 v13, 7, v11
	v_cmp_lt_i32_e32 vcc, 5, v13
	v_cmp_eq_u32_e64 s[2:3], 3, v13
	v_cvt_f64_f32_e32 v[13:14], v7
	v_lshrrev_b32_e32 v11, 2, v11
	s_or_b64 vcc, s[2:3], vcc
	v_addc_co_u32_e32 v7, vcc, 0, v11, vcc
	v_mul_f64 v[13:14], v[13:14], s[12:13]
	v_cmp_gt_i32_e32 vcc, 31, v15
	v_cndmask_b32_e32 v7, v4, v7, vcc
	v_cmp_ne_u32_e32 vcc, 0, v2
	v_cndmask_b32_e64 v2, 0, 1, vcc
	v_lshl_or_b32 v2, v2, 9, v4
	v_cmp_eq_u32_e32 vcc, s11, v15
	v_cndmask_b32_e32 v2, v7, v2, vcc
	v_lshrrev_b32_e32 v7, 16, v12
	v_and_or_b32 v2, v7, s14, v2
	v_and_or_b32 v7, v14, s15, v13
	v_cmp_ne_u32_e32 vcc, 0, v7
	v_cndmask_b32_e64 v7, 0, 1, vcc
	v_lshrrev_b32_e32 v11, 8, v14
	v_bfe_u32 v12, v14, 20, 11
	v_and_or_b32 v7, v11, s10, v7
	v_sub_u32_e32 v13, 0x3f1, v12
	v_or_b32_e32 v11, 0x1000, v7
	v_med3_i32 v13, v13, 0, 13
	v_lshrrev_b32_e32 v15, v13, v11
	v_lshlrev_b32_e32 v13, v13, v15
	v_cmp_ne_u32_e32 vcc, v13, v11
	v_cndmask_b32_e64 v11, 0, 1, vcc
	v_add_u32_e32 v13, 0xfffffc10, v12
	v_or_b32_e32 v11, v15, v11
	v_lshl_or_b32 v12, v13, 12, v7
	v_cmp_gt_i32_e32 vcc, 1, v13
	v_cndmask_b32_e32 v11, v12, v11, vcc
	v_and_b32_e32 v12, 7, v11
	v_cmp_lt_i32_e32 vcc, 5, v12
	v_cmp_eq_u32_e64 s[2:3], 3, v12
	v_lshrrev_b32_e32 v11, 2, v11
	s_or_b64 vcc, s[2:3], vcc
	v_addc_co_u32_e32 v11, vcc, 0, v11, vcc
	v_cmp_gt_i32_e32 vcc, 31, v13
	v_lshrrev_b32_e32 v16, 16, v8
	v_cndmask_b32_e32 v15, v4, v11, vcc
	v_mul_f16_sdwa v11, v69, v16 dst_sel:DWORD dst_unused:UNUSED_PAD src0_sel:WORD_1 src1_sel:DWORD
	v_fma_f16 v11, v69, v8, v11
	v_cvt_f32_f16_e32 v11, v11
	v_cmp_ne_u32_e32 vcc, 0, v7
	v_cndmask_b32_e64 v7, 0, 1, vcc
	v_lshl_or_b32 v7, v7, 9, v4
	v_cvt_f64_f32_e32 v[11:12], v11
	v_cmp_eq_u32_e32 vcc, s11, v13
	v_cndmask_b32_e32 v7, v15, v7, vcc
	v_lshrrev_b32_e32 v13, 16, v14
	v_mul_f64 v[11:12], v[11:12], s[12:13]
	v_and_or_b32 v7, v13, s14, v7
	v_and_b32_e32 v2, 0xffff, v2
	v_add_co_u32_e32 v9, vcc, s6, v9
	v_lshl_or_b32 v2, v7, 16, v2
	v_addc_co_u32_e32 v10, vcc, v10, v6, vcc
	global_store_dword v[9:10], v2, off
	v_and_or_b32 v2, v12, s15, v11
	v_cmp_ne_u32_e32 vcc, 0, v2
	v_cndmask_b32_e64 v2, 0, 1, vcc
	v_lshrrev_b32_e32 v7, 8, v12
	v_bfe_u32 v11, v12, 20, 11
	v_and_or_b32 v2, v7, s10, v2
	v_sub_u32_e32 v13, 0x3f1, v11
	v_or_b32_e32 v7, 0x1000, v2
	v_med3_i32 v13, v13, 0, 13
	v_lshrrev_b32_e32 v14, v13, v7
	v_lshlrev_b32_e32 v13, v13, v14
	v_mul_f16_sdwa v8, v69, v8 dst_sel:DWORD dst_unused:UNUSED_PAD src0_sel:WORD_1 src1_sel:DWORD
	v_cmp_ne_u32_e32 vcc, v13, v7
	v_fma_f16 v8, v69, v16, -v8
	v_cndmask_b32_e64 v7, 0, 1, vcc
	v_add_u32_e32 v11, 0xfffffc10, v11
	v_cvt_f32_f16_e32 v8, v8
	v_or_b32_e32 v7, v14, v7
	v_lshl_or_b32 v13, v11, 12, v2
	v_cmp_gt_i32_e32 vcc, 1, v11
	v_cndmask_b32_e32 v7, v13, v7, vcc
	v_and_b32_e32 v13, 7, v7
	v_cmp_lt_i32_e32 vcc, 5, v13
	v_cmp_eq_u32_e64 s[2:3], 3, v13
	v_lshrrev_b32_e32 v13, 2, v7
	v_cvt_f64_f32_e32 v[7:8], v8
	s_or_b64 vcc, s[2:3], vcc
	v_addc_co_u32_e32 v13, vcc, 0, v13, vcc
	v_mul_f64 v[7:8], v[7:8], s[12:13]
	v_cmp_gt_i32_e32 vcc, 31, v11
	v_cndmask_b32_e32 v13, v4, v13, vcc
	v_cmp_ne_u32_e32 vcc, 0, v2
	v_cndmask_b32_e64 v2, 0, 1, vcc
	v_lshl_or_b32 v2, v2, 9, v4
	v_cmp_eq_u32_e32 vcc, s11, v11
	v_cndmask_b32_e32 v2, v13, v2, vcc
	v_and_or_b32 v7, v8, s15, v7
	v_lshrrev_b32_e32 v11, 16, v12
	v_cmp_ne_u32_e32 vcc, 0, v7
	v_and_or_b32 v2, v11, s14, v2
	v_cndmask_b32_e64 v7, 0, 1, vcc
	v_lshrrev_b32_e32 v11, 8, v8
	v_bfe_u32 v12, v8, 20, 11
	v_and_or_b32 v7, v11, s10, v7
	v_sub_u32_e32 v13, 0x3f1, v12
	v_or_b32_e32 v11, 0x1000, v7
	v_med3_i32 v13, v13, 0, 13
	v_lshrrev_b32_e32 v14, v13, v11
	v_lshlrev_b32_e32 v13, v13, v14
	v_cmp_ne_u32_e32 vcc, v13, v11
	v_cndmask_b32_e64 v11, 0, 1, vcc
	v_add_u32_e32 v15, 0xfffffc10, v12
	v_or_b32_e32 v11, v14, v11
	v_lshl_or_b32 v12, v15, 12, v7
	v_cmp_gt_i32_e32 vcc, 1, v15
	v_cndmask_b32_e32 v11, v12, v11, vcc
	v_and_b32_e32 v12, 7, v11
	v_cmp_lt_i32_e32 vcc, 5, v12
	v_cmp_eq_u32_e64 s[2:3], 3, v12
	v_lshrrev_b32_e32 v13, 2, v11
	ds_read2_b32 v[11:12], v5 offset0:76 offset1:238
	s_or_b64 vcc, s[2:3], vcc
	v_addc_co_u32_e32 v5, vcc, 0, v13, vcc
	v_cmp_gt_i32_e32 vcc, 31, v15
	s_waitcnt lgkmcnt(0)
	v_lshrrev_b32_e32 v16, 16, v11
	v_mul_f16_sdwa v13, v68, v16 dst_sel:DWORD dst_unused:UNUSED_PAD src0_sel:WORD_1 src1_sel:DWORD
	v_fma_f16 v13, v68, v11, v13
	v_cvt_f32_f16_e32 v13, v13
	v_cndmask_b32_e32 v5, v4, v5, vcc
	v_cmp_ne_u32_e32 vcc, 0, v7
	v_cndmask_b32_e64 v7, 0, 1, vcc
	v_cvt_f64_f32_e32 v[13:14], v13
	v_lshl_or_b32 v7, v7, 9, v4
	v_cmp_eq_u32_e32 vcc, s11, v15
	v_cndmask_b32_e32 v5, v5, v7, vcc
	v_lshrrev_b32_e32 v7, 16, v8
	v_and_or_b32 v5, v7, s14, v5
	v_mul_f64 v[7:8], v[13:14], s[12:13]
	v_and_b32_e32 v2, 0xffff, v2
	v_add_co_u32_e32 v9, vcc, s6, v9
	v_lshl_or_b32 v2, v5, 16, v2
	v_addc_co_u32_e32 v10, vcc, v10, v6, vcc
	global_store_dword v[9:10], v2, off
	v_and_or_b32 v2, v8, s15, v7
	v_cmp_ne_u32_e32 vcc, 0, v2
	v_cndmask_b32_e64 v2, 0, 1, vcc
	v_lshrrev_b32_e32 v5, 8, v8
	v_bfe_u32 v7, v8, 20, 11
	v_and_or_b32 v2, v5, s10, v2
	v_sub_u32_e32 v13, 0x3f1, v7
	v_or_b32_e32 v5, 0x1000, v2
	v_med3_i32 v13, v13, 0, 13
	v_lshrrev_b32_e32 v14, v13, v5
	v_lshlrev_b32_e32 v13, v13, v14
	v_mul_f16_sdwa v11, v68, v11 dst_sel:DWORD dst_unused:UNUSED_PAD src0_sel:WORD_1 src1_sel:DWORD
	v_cmp_ne_u32_e32 vcc, v13, v5
	v_fma_f16 v11, v68, v16, -v11
	v_cndmask_b32_e64 v5, 0, 1, vcc
	v_add_u32_e32 v7, 0xfffffc10, v7
	v_cvt_f32_f16_e32 v11, v11
	v_or_b32_e32 v5, v14, v5
	v_lshl_or_b32 v13, v7, 12, v2
	v_cmp_gt_i32_e32 vcc, 1, v7
	v_cndmask_b32_e32 v5, v13, v5, vcc
	v_and_b32_e32 v13, 7, v5
	v_cmp_lt_i32_e32 vcc, 5, v13
	v_cmp_eq_u32_e64 s[2:3], 3, v13
	v_cvt_f64_f32_e32 v[13:14], v11
	v_lshrrev_b32_e32 v5, 2, v5
	s_or_b64 vcc, s[2:3], vcc
	v_addc_co_u32_e32 v5, vcc, 0, v5, vcc
	v_mul_f64 v[13:14], v[13:14], s[12:13]
	v_cmp_gt_i32_e32 vcc, 31, v7
	v_cndmask_b32_e32 v5, v4, v5, vcc
	v_cmp_ne_u32_e32 vcc, 0, v2
	v_cndmask_b32_e64 v2, 0, 1, vcc
	v_lshl_or_b32 v2, v2, 9, v4
	v_cmp_eq_u32_e32 vcc, s11, v7
	v_cndmask_b32_e32 v2, v5, v2, vcc
	v_lshrrev_b32_e32 v5, 16, v8
	v_and_or_b32 v2, v5, s14, v2
	v_and_or_b32 v5, v14, s15, v13
	v_cmp_ne_u32_e32 vcc, 0, v5
	v_cndmask_b32_e64 v5, 0, 1, vcc
	v_lshrrev_b32_e32 v7, 8, v14
	v_bfe_u32 v8, v14, 20, 11
	v_and_or_b32 v5, v7, s10, v5
	v_sub_u32_e32 v11, 0x3f1, v8
	v_or_b32_e32 v7, 0x1000, v5
	v_med3_i32 v11, v11, 0, 13
	v_lshrrev_b32_e32 v13, v11, v7
	v_lshlrev_b32_e32 v11, v11, v13
	v_cmp_ne_u32_e32 vcc, v11, v7
	v_cndmask_b32_e64 v7, 0, 1, vcc
	v_add_u32_e32 v11, 0xfffffc10, v8
	v_or_b32_e32 v7, v13, v7
	v_lshl_or_b32 v8, v11, 12, v5
	v_cmp_gt_i32_e32 vcc, 1, v11
	v_cndmask_b32_e32 v7, v8, v7, vcc
	v_and_b32_e32 v8, 7, v7
	v_cmp_lt_i32_e32 vcc, 5, v8
	v_cmp_eq_u32_e64 s[2:3], 3, v8
	v_lshrrev_b32_e32 v7, 2, v7
	s_or_b64 vcc, s[2:3], vcc
	v_addc_co_u32_e32 v7, vcc, 0, v7, vcc
	v_cmp_gt_i32_e32 vcc, 31, v11
	v_lshrrev_b32_e32 v15, 16, v12
	v_cndmask_b32_e32 v13, v4, v7, vcc
	v_mul_f16_sdwa v7, v67, v15 dst_sel:DWORD dst_unused:UNUSED_PAD src0_sel:WORD_1 src1_sel:DWORD
	v_fma_f16 v7, v67, v12, v7
	v_cvt_f32_f16_e32 v7, v7
	v_cmp_ne_u32_e32 vcc, 0, v5
	v_cndmask_b32_e64 v5, 0, 1, vcc
	v_lshl_or_b32 v5, v5, 9, v4
	v_cvt_f64_f32_e32 v[7:8], v7
	v_cmp_eq_u32_e32 vcc, s11, v11
	v_cndmask_b32_e32 v5, v13, v5, vcc
	v_lshrrev_b32_e32 v11, 16, v14
	v_mul_f64 v[7:8], v[7:8], s[12:13]
	v_and_or_b32 v5, v11, s14, v5
	v_and_b32_e32 v2, 0xffff, v2
	v_add_co_u32_e32 v9, vcc, s6, v9
	v_lshl_or_b32 v2, v5, 16, v2
	v_addc_co_u32_e32 v10, vcc, v10, v6, vcc
	global_store_dword v[9:10], v2, off
	v_and_or_b32 v2, v8, s15, v7
	v_cmp_ne_u32_e32 vcc, 0, v2
	v_cndmask_b32_e64 v2, 0, 1, vcc
	v_lshrrev_b32_e32 v5, 8, v8
	v_bfe_u32 v7, v8, 20, 11
	v_and_or_b32 v2, v5, s10, v2
	v_sub_u32_e32 v11, 0x3f1, v7
	v_or_b32_e32 v5, 0x1000, v2
	v_med3_i32 v11, v11, 0, 13
	v_lshrrev_b32_e32 v13, v11, v5
	v_lshlrev_b32_e32 v11, v11, v13
	v_mul_f16_sdwa v12, v67, v12 dst_sel:DWORD dst_unused:UNUSED_PAD src0_sel:WORD_1 src1_sel:DWORD
	v_cmp_ne_u32_e32 vcc, v11, v5
	v_fma_f16 v12, v67, v15, -v12
	v_cndmask_b32_e64 v5, 0, 1, vcc
	v_add_u32_e32 v7, 0xfffffc10, v7
	v_cvt_f32_f16_e32 v12, v12
	v_or_b32_e32 v5, v13, v5
	v_lshl_or_b32 v11, v7, 12, v2
	v_cmp_gt_i32_e32 vcc, 1, v7
	v_cndmask_b32_e32 v5, v11, v5, vcc
	v_and_b32_e32 v11, 7, v5
	v_cmp_lt_i32_e32 vcc, 5, v11
	v_cmp_eq_u32_e64 s[2:3], 3, v11
	v_cvt_f64_f32_e32 v[11:12], v12
	v_lshrrev_b32_e32 v5, 2, v5
	s_or_b64 vcc, s[2:3], vcc
	v_addc_co_u32_e32 v5, vcc, 0, v5, vcc
	v_mul_f64 v[11:12], v[11:12], s[12:13]
	v_cmp_gt_i32_e32 vcc, 31, v7
	v_cndmask_b32_e32 v5, v4, v5, vcc
	v_cmp_ne_u32_e32 vcc, 0, v2
	v_cndmask_b32_e64 v2, 0, 1, vcc
	v_lshl_or_b32 v2, v2, 9, v4
	v_cmp_eq_u32_e32 vcc, s11, v7
	v_cndmask_b32_e32 v2, v5, v2, vcc
	v_lshrrev_b32_e32 v5, 16, v8
	v_and_or_b32 v5, v5, s14, v2
	v_and_or_b32 v2, v12, s15, v11
	v_cmp_ne_u32_e32 vcc, 0, v2
	v_cndmask_b32_e64 v2, 0, 1, vcc
	v_lshrrev_b32_e32 v7, 8, v12
	v_bfe_u32 v8, v12, 20, 11
	v_and_or_b32 v7, v7, s10, v2
	v_sub_u32_e32 v11, 0x3f1, v8
	v_or_b32_e32 v2, 0x1000, v7
	v_med3_i32 v11, v11, 0, 13
	v_lshrrev_b32_e32 v13, v11, v2
	v_lshlrev_b32_e32 v11, v11, v13
	v_cmp_ne_u32_e32 vcc, v11, v2
	v_cndmask_b32_e64 v2, 0, 1, vcc
	v_add_u32_e32 v11, 0xfffffc10, v8
	v_or_b32_e32 v2, v13, v2
	v_lshl_or_b32 v8, v11, 12, v7
	v_cmp_gt_i32_e32 vcc, 1, v11
	v_cndmask_b32_e32 v2, v8, v2, vcc
	v_and_b32_e32 v8, 7, v2
	v_cmp_lt_i32_e32 vcc, 5, v8
	v_cmp_eq_u32_e64 s[2:3], 3, v8
	v_lshrrev_b32_e32 v8, 2, v2
	ds_read2_b32 v[2:3], v3 offset0:16 offset1:178
	s_or_b64 vcc, s[2:3], vcc
	v_addc_co_u32_e32 v8, vcc, 0, v8, vcc
	v_cmp_gt_i32_e32 vcc, 31, v11
	s_waitcnt lgkmcnt(0)
	v_lshrrev_b32_e32 v14, 16, v2
	v_cndmask_b32_e32 v13, v4, v8, vcc
	v_mul_f16_sdwa v8, v66, v14 dst_sel:DWORD dst_unused:UNUSED_PAD src0_sel:WORD_1 src1_sel:DWORD
	v_fma_f16 v8, v66, v2, v8
	v_cvt_f32_f16_e32 v8, v8
	v_cmp_ne_u32_e32 vcc, 0, v7
	v_cndmask_b32_e64 v7, 0, 1, vcc
	v_lshl_or_b32 v15, v7, 9, v4
	v_cvt_f64_f32_e32 v[7:8], v8
	v_cmp_eq_u32_e32 vcc, s11, v11
	v_cndmask_b32_e32 v11, v13, v15, vcc
	v_lshrrev_b32_e32 v12, 16, v12
	v_mul_f64 v[7:8], v[7:8], s[12:13]
	v_and_or_b32 v11, v12, s14, v11
	v_and_b32_e32 v5, 0xffff, v5
	v_add_co_u32_e32 v9, vcc, s6, v9
	v_lshl_or_b32 v5, v11, 16, v5
	v_addc_co_u32_e32 v10, vcc, v10, v6, vcc
	global_store_dword v[9:10], v5, off
	v_and_or_b32 v5, v8, s15, v7
	v_cmp_ne_u32_e32 vcc, 0, v5
	v_cndmask_b32_e64 v5, 0, 1, vcc
	v_lshrrev_b32_e32 v7, 8, v8
	v_bfe_u32 v11, v8, 20, 11
	v_and_or_b32 v5, v7, s10, v5
	v_sub_u32_e32 v12, 0x3f1, v11
	v_or_b32_e32 v7, 0x1000, v5
	v_med3_i32 v12, v12, 0, 13
	v_lshrrev_b32_e32 v13, v12, v7
	v_lshlrev_b32_e32 v12, v12, v13
	v_cmp_ne_u32_e32 vcc, v12, v7
	v_mul_f16_sdwa v2, v66, v2 dst_sel:DWORD dst_unused:UNUSED_PAD src0_sel:WORD_1 src1_sel:DWORD
	v_cndmask_b32_e64 v7, 0, 1, vcc
	v_fma_f16 v2, v66, v14, -v2
	v_or_b32_e32 v7, v13, v7
	v_add_u32_e32 v13, 0xfffffc10, v11
	v_cvt_f32_f16_e32 v2, v2
	v_lshl_or_b32 v11, v13, 12, v5
	v_cmp_gt_i32_e32 vcc, 1, v13
	v_cndmask_b32_e32 v7, v11, v7, vcc
	v_and_b32_e32 v11, 7, v7
	v_cmp_lt_i32_e32 vcc, 5, v11
	v_cmp_eq_u32_e64 s[2:3], 3, v11
	v_cvt_f64_f32_e32 v[11:12], v2
	v_lshrrev_b32_e32 v7, 2, v7
	s_or_b64 vcc, s[2:3], vcc
	v_addc_co_u32_e32 v2, vcc, 0, v7, vcc
	v_mul_f64 v[11:12], v[11:12], s[12:13]
	v_cmp_gt_i32_e32 vcc, 31, v13
	v_cndmask_b32_e32 v2, v4, v2, vcc
	v_cmp_ne_u32_e32 vcc, 0, v5
	v_cndmask_b32_e64 v5, 0, 1, vcc
	v_lshl_or_b32 v5, v5, 9, v4
	v_cmp_eq_u32_e32 vcc, s11, v13
	v_cndmask_b32_e32 v2, v2, v5, vcc
	v_lshrrev_b32_e32 v5, 16, v8
	v_and_or_b32 v2, v5, s14, v2
	v_and_or_b32 v5, v12, s15, v11
	v_cmp_ne_u32_e32 vcc, 0, v5
	v_cndmask_b32_e64 v5, 0, 1, vcc
	v_lshrrev_b32_e32 v7, 8, v12
	v_bfe_u32 v8, v12, 20, 11
	v_and_or_b32 v5, v7, s10, v5
	v_sub_u32_e32 v11, 0x3f1, v8
	v_or_b32_e32 v7, 0x1000, v5
	v_med3_i32 v11, v11, 0, 13
	v_lshrrev_b32_e32 v13, v11, v7
	v_lshlrev_b32_e32 v11, v11, v13
	v_cmp_ne_u32_e32 vcc, v11, v7
	v_cndmask_b32_e64 v7, 0, 1, vcc
	v_add_u32_e32 v11, 0xfffffc10, v8
	v_or_b32_e32 v7, v13, v7
	v_lshl_or_b32 v8, v11, 12, v5
	v_cmp_gt_i32_e32 vcc, 1, v11
	v_cndmask_b32_e32 v7, v8, v7, vcc
	v_and_b32_e32 v8, 7, v7
	v_cmp_lt_i32_e32 vcc, 5, v8
	v_cmp_eq_u32_e64 s[2:3], 3, v8
	v_lshrrev_b32_e32 v7, 2, v7
	s_or_b64 vcc, s[2:3], vcc
	v_addc_co_u32_e32 v7, vcc, 0, v7, vcc
	v_cmp_gt_i32_e32 vcc, 31, v11
	v_lshrrev_b32_e32 v14, 16, v3
	v_cndmask_b32_e32 v13, v4, v7, vcc
	v_mul_f16_sdwa v7, v65, v14 dst_sel:DWORD dst_unused:UNUSED_PAD src0_sel:WORD_1 src1_sel:DWORD
	v_fma_f16 v7, v65, v3, v7
	v_cvt_f32_f16_e32 v7, v7
	v_cmp_ne_u32_e32 vcc, 0, v5
	v_cndmask_b32_e64 v5, 0, 1, vcc
	v_lshl_or_b32 v5, v5, 9, v4
	v_cvt_f64_f32_e32 v[7:8], v7
	v_cmp_eq_u32_e32 vcc, s11, v11
	v_cndmask_b32_e32 v5, v13, v5, vcc
	v_lshrrev_b32_e32 v11, 16, v12
	v_mul_f64 v[7:8], v[7:8], s[12:13]
	v_and_or_b32 v5, v11, s14, v5
	v_and_b32_e32 v2, 0xffff, v2
	v_add_co_u32_e32 v9, vcc, s6, v9
	v_lshl_or_b32 v2, v5, 16, v2
	v_addc_co_u32_e32 v10, vcc, v10, v6, vcc
	global_store_dword v[9:10], v2, off
	v_and_or_b32 v2, v8, s15, v7
	v_cmp_ne_u32_e32 vcc, 0, v2
	v_cndmask_b32_e64 v2, 0, 1, vcc
	v_lshrrev_b32_e32 v5, 8, v8
	v_bfe_u32 v7, v8, 20, 11
	v_and_or_b32 v5, v5, s10, v2
	v_sub_u32_e32 v11, 0x3f1, v7
	v_or_b32_e32 v2, 0x1000, v5
	v_med3_i32 v11, v11, 0, 13
	v_lshrrev_b32_e32 v12, v11, v2
	v_lshlrev_b32_e32 v11, v11, v12
	v_mul_f16_sdwa v3, v65, v3 dst_sel:DWORD dst_unused:UNUSED_PAD src0_sel:WORD_1 src1_sel:DWORD
	v_cmp_ne_u32_e32 vcc, v11, v2
	v_fma_f16 v3, v65, v14, -v3
	v_cndmask_b32_e64 v2, 0, 1, vcc
	v_add_u32_e32 v7, 0xfffffc10, v7
	v_cvt_f32_f16_e32 v3, v3
	v_or_b32_e32 v2, v12, v2
	v_lshl_or_b32 v11, v7, 12, v5
	v_cmp_gt_i32_e32 vcc, 1, v7
	v_cndmask_b32_e32 v2, v11, v2, vcc
	v_and_b32_e32 v11, 7, v2
	v_cmp_lt_i32_e32 vcc, 5, v11
	v_cmp_eq_u32_e64 s[2:3], 3, v11
	v_lshrrev_b32_e32 v11, 2, v2
	v_cvt_f64_f32_e32 v[2:3], v3
	s_or_b64 vcc, s[2:3], vcc
	v_addc_co_u32_e32 v11, vcc, 0, v11, vcc
	v_mul_f64 v[2:3], v[2:3], s[12:13]
	v_cmp_gt_i32_e32 vcc, 31, v7
	v_cndmask_b32_e32 v11, v4, v11, vcc
	v_cmp_ne_u32_e32 vcc, 0, v5
	v_cndmask_b32_e64 v5, 0, 1, vcc
	v_lshl_or_b32 v5, v5, 9, v4
	v_cmp_eq_u32_e32 vcc, s11, v7
	v_cndmask_b32_e32 v5, v11, v5, vcc
	v_and_or_b32 v2, v3, s15, v2
	v_lshrrev_b32_e32 v7, 16, v8
	v_cmp_ne_u32_e32 vcc, 0, v2
	v_and_or_b32 v5, v7, s14, v5
	v_cndmask_b32_e64 v2, 0, 1, vcc
	v_lshrrev_b32_e32 v7, 8, v3
	v_bfe_u32 v8, v3, 20, 11
	v_and_or_b32 v2, v7, s10, v2
	v_sub_u32_e32 v11, 0x3f1, v8
	v_or_b32_e32 v7, 0x1000, v2
	v_med3_i32 v11, v11, 0, 13
	v_lshrrev_b32_e32 v12, v11, v7
	v_lshlrev_b32_e32 v11, v11, v12
	v_cmp_ne_u32_e32 vcc, v11, v7
	v_cndmask_b32_e64 v7, 0, 1, vcc
	v_add_u32_e32 v11, 0xfffffc10, v8
	v_or_b32_e32 v7, v12, v7
	v_lshl_or_b32 v8, v11, 12, v2
	v_cmp_gt_i32_e32 vcc, 1, v11
	v_cndmask_b32_e32 v7, v8, v7, vcc
	ds_read_b32 v12, v63 offset:6480
	v_and_b32_e32 v8, 7, v7
	v_cmp_lt_i32_e32 vcc, 5, v8
	v_cmp_eq_u32_e64 s[2:3], 3, v8
	v_lshrrev_b32_e32 v7, 2, v7
	s_or_b64 vcc, s[2:3], vcc
	v_addc_co_u32_e32 v7, vcc, 0, v7, vcc
	v_cmp_gt_i32_e32 vcc, 31, v11
	s_waitcnt lgkmcnt(0)
	v_lshrrev_b32_e32 v14, 16, v12
	v_cndmask_b32_e32 v13, v4, v7, vcc
	v_mul_f16_sdwa v7, v64, v14 dst_sel:DWORD dst_unused:UNUSED_PAD src0_sel:WORD_1 src1_sel:DWORD
	v_fma_f16 v7, v64, v12, v7
	v_cvt_f32_f16_e32 v7, v7
	v_cmp_ne_u32_e32 vcc, 0, v2
	v_cndmask_b32_e64 v2, 0, 1, vcc
	v_lshl_or_b32 v2, v2, 9, v4
	v_cvt_f64_f32_e32 v[7:8], v7
	v_cmp_eq_u32_e32 vcc, s11, v11
	v_cndmask_b32_e32 v2, v13, v2, vcc
	v_lshrrev_b32_e32 v3, 16, v3
	v_and_or_b32 v11, v3, s14, v2
	v_mul_f64 v[2:3], v[7:8], s[12:13]
	v_add_co_u32_e32 v7, vcc, s6, v9
	v_and_b32_e32 v5, 0xffff, v5
	v_addc_co_u32_e32 v8, vcc, v10, v6, vcc
	v_lshl_or_b32 v5, v11, 16, v5
	global_store_dword v[7:8], v5, off
	v_and_or_b32 v2, v3, s15, v2
	v_cmp_ne_u32_e32 vcc, 0, v2
	v_cndmask_b32_e64 v2, 0, 1, vcc
	v_lshrrev_b32_e32 v5, 8, v3
	v_bfe_u32 v9, v3, 20, 11
	v_and_or_b32 v2, v5, s10, v2
	v_sub_u32_e32 v10, 0x3f1, v9
	v_or_b32_e32 v5, 0x1000, v2
	v_med3_i32 v10, v10, 0, 13
	v_lshrrev_b32_e32 v11, v10, v5
	v_lshlrev_b32_e32 v10, v10, v11
	v_cmp_ne_u32_e32 vcc, v10, v5
	v_mul_f16_sdwa v10, v64, v12 dst_sel:DWORD dst_unused:UNUSED_PAD src0_sel:WORD_1 src1_sel:DWORD
	v_cndmask_b32_e64 v5, 0, 1, vcc
	v_fma_f16 v10, v64, v14, -v10
	v_or_b32_e32 v5, v11, v5
	v_add_u32_e32 v11, 0xfffffc10, v9
	v_cvt_f32_f16_e32 v10, v10
	v_lshl_or_b32 v9, v11, 12, v2
	v_cmp_gt_i32_e32 vcc, 1, v11
	v_cndmask_b32_e32 v5, v9, v5, vcc
	v_and_b32_e32 v9, 7, v5
	v_cmp_lt_i32_e32 vcc, 5, v9
	v_cmp_eq_u32_e64 s[2:3], 3, v9
	v_cvt_f64_f32_e32 v[9:10], v10
	v_lshrrev_b32_e32 v5, 2, v5
	s_or_b64 vcc, s[2:3], vcc
	v_addc_co_u32_e32 v5, vcc, 0, v5, vcc
	v_mul_f64 v[9:10], v[9:10], s[12:13]
	v_cmp_gt_i32_e32 vcc, 31, v11
	v_cndmask_b32_e32 v5, v4, v5, vcc
	v_cmp_ne_u32_e32 vcc, 0, v2
	v_cndmask_b32_e64 v2, 0, 1, vcc
	v_lshl_or_b32 v2, v2, 9, v4
	v_cmp_eq_u32_e32 vcc, s11, v11
	v_cndmask_b32_e32 v2, v5, v2, vcc
	v_lshrrev_b32_e32 v3, 16, v3
	v_and_or_b32 v2, v3, s14, v2
	v_and_or_b32 v3, v10, s15, v9
	v_cmp_ne_u32_e32 vcc, 0, v3
	v_cndmask_b32_e64 v3, 0, 1, vcc
	v_lshrrev_b32_e32 v5, 8, v10
	v_bfe_u32 v9, v10, 20, 11
	v_and_or_b32 v3, v5, s10, v3
	v_sub_u32_e32 v11, 0x3f1, v9
	v_or_b32_e32 v5, 0x1000, v3
	v_med3_i32 v11, v11, 0, 13
	v_lshrrev_b32_e32 v12, v11, v5
	v_lshlrev_b32_e32 v11, v11, v12
	v_cmp_ne_u32_e32 vcc, v11, v5
	v_cndmask_b32_e64 v5, 0, 1, vcc
	v_add_u32_e32 v9, 0xfffffc10, v9
	v_or_b32_e32 v5, v12, v5
	v_lshl_or_b32 v11, v9, 12, v3
	v_cmp_gt_i32_e32 vcc, 1, v9
	v_cndmask_b32_e32 v5, v11, v5, vcc
	v_and_b32_e32 v11, 7, v5
	v_cmp_lt_i32_e32 vcc, 5, v11
	v_cmp_eq_u32_e64 s[2:3], 3, v11
	v_lshrrev_b32_e32 v5, 2, v5
	s_or_b64 vcc, s[2:3], vcc
	v_addc_co_u32_e32 v5, vcc, 0, v5, vcc
	v_cmp_gt_i32_e32 vcc, 31, v9
	v_cndmask_b32_e32 v5, v4, v5, vcc
	v_cmp_ne_u32_e32 vcc, 0, v3
	v_cndmask_b32_e64 v3, 0, 1, vcc
	v_lshl_or_b32 v3, v3, 9, v4
	v_cmp_eq_u32_e32 vcc, s11, v9
	v_cndmask_b32_e32 v3, v5, v3, vcc
	v_lshrrev_b32_e32 v5, 16, v10
	v_and_or_b32 v3, v5, s14, v3
	v_and_b32_e32 v2, 0xffff, v2
	v_lshl_or_b32 v5, v3, 16, v2
	v_add_co_u32_e32 v2, vcc, s6, v7
	v_addc_co_u32_e32 v3, vcc, v8, v6, vcc
	global_store_dword v[2:3], v5, off
	s_and_b64 exec, exec, s[0:1]
	s_cbranch_execz .LBB0_15
; %bb.14:
	global_load_dword v7, v[0:1], off offset:396
	v_add_u32_e32 v5, 0x100, v63
	ds_read2_b32 v[5:6], v5 offset0:35 offset1:197
	s_waitcnt lgkmcnt(0)
	v_lshrrev_b32_e32 v8, 16, v5
	s_waitcnt vmcnt(0)
	v_mul_f16_sdwa v9, v8, v7 dst_sel:DWORD dst_unused:UNUSED_PAD src0_sel:DWORD src1_sel:WORD_1
	v_fma_f16 v9, v5, v7, v9
	v_mul_f16_sdwa v5, v5, v7 dst_sel:DWORD dst_unused:UNUSED_PAD src0_sel:DWORD src1_sel:WORD_1
	v_cvt_f32_f16_e32 v9, v9
	v_fma_f16 v5, v7, v8, -v5
	v_cvt_f32_f16_e32 v5, v5
	v_cvt_f64_f32_e32 v[7:8], v9
	v_cvt_f64_f32_e32 v[9:10], v5
	v_mov_b32_e32 v5, 0xffffe83c
	v_mul_f64 v[7:8], v[7:8], s[12:13]
	v_mad_u64_u32 v[11:12], s[0:1], s8, v5, v[2:3]
	v_mul_f64 v[2:3], v[9:10], s[12:13]
	s_mul_i32 s0, s9, 0xffffe83c
	s_sub_i32 s0, s0, s8
	v_add_u32_e32 v12, s0, v12
	v_and_or_b32 v5, v8, s15, v7
	v_cmp_ne_u32_e32 vcc, 0, v5
	v_lshrrev_b32_e32 v7, 8, v8
	v_and_or_b32 v2, v3, s15, v2
	v_bfe_u32 v9, v8, 20, 11
	v_cndmask_b32_e64 v5, 0, 1, vcc
	v_cmp_ne_u32_e32 vcc, 0, v2
	v_lshrrev_b32_e32 v10, 8, v3
	v_bfe_u32 v13, v3, 20, 11
	v_sub_u32_e32 v14, 0x3f1, v9
	v_cndmask_b32_e64 v2, 0, 1, vcc
	v_and_or_b32 v5, v7, s10, v5
	v_sub_u32_e32 v15, 0x3f1, v13
	v_med3_i32 v7, v14, 0, 13
	v_and_or_b32 v2, v10, s10, v2
	v_or_b32_e32 v14, 0x1000, v5
	v_add_u32_e32 v9, 0xfffffc10, v9
	v_med3_i32 v10, v15, 0, 13
	v_cmp_ne_u32_e32 vcc, 0, v5
	v_or_b32_e32 v16, 0x1000, v2
	v_lshrrev_b32_e32 v18, v7, v14
	v_add_u32_e32 v13, 0xfffffc10, v13
	v_lshl_or_b32 v15, v9, 12, v5
	v_cndmask_b32_e64 v5, 0, 1, vcc
	v_cmp_ne_u32_e32 vcc, 0, v2
	v_lshrrev_b32_e32 v19, v10, v16
	v_lshlrev_b32_e32 v7, v7, v18
	v_lshl_or_b32 v17, v13, 12, v2
	v_cndmask_b32_e64 v2, 0, 1, vcc
	v_lshlrev_b32_e32 v10, v10, v19
	v_cmp_ne_u32_e32 vcc, v7, v14
	v_cndmask_b32_e64 v7, 0, 1, vcc
	v_cmp_ne_u32_e32 vcc, v10, v16
	v_cndmask_b32_e64 v10, 0, 1, vcc
	v_or_b32_e32 v7, v18, v7
	v_cmp_gt_i32_e32 vcc, 1, v9
	v_cndmask_b32_e32 v7, v15, v7, vcc
	v_or_b32_e32 v10, v19, v10
	v_cmp_gt_i32_e32 vcc, 1, v13
	v_and_b32_e32 v14, 7, v7
	v_cndmask_b32_e32 v10, v17, v10, vcc
	v_cmp_lt_i32_e32 vcc, 5, v14
	v_cmp_eq_u32_e64 s[0:1], 3, v14
	v_lshrrev_b32_e32 v7, 2, v7
	v_and_b32_e32 v15, 7, v10
	s_or_b64 vcc, s[0:1], vcc
	v_cmp_lt_i32_e64 s[2:3], 5, v15
	v_cmp_eq_u32_e64 s[4:5], 3, v15
	v_addc_co_u32_e32 v7, vcc, 0, v7, vcc
	v_lshrrev_b32_e32 v10, 2, v10
	s_or_b64 vcc, s[4:5], s[2:3]
	v_addc_co_u32_e32 v10, vcc, 0, v10, vcc
	v_cmp_gt_i32_e32 vcc, 31, v9
	v_cndmask_b32_e32 v7, v4, v7, vcc
	v_cmp_gt_i32_e32 vcc, 31, v13
	v_lshl_or_b32 v5, v5, 9, v4
	v_cndmask_b32_e32 v10, v4, v10, vcc
	v_cmp_eq_u32_e32 vcc, s11, v9
	v_lshrrev_b32_e32 v8, 16, v8
	v_lshl_or_b32 v2, v2, 9, v4
	v_cndmask_b32_e32 v5, v7, v5, vcc
	v_cmp_eq_u32_e32 vcc, s11, v13
	v_lshrrev_b32_e32 v3, 16, v3
	v_cndmask_b32_e32 v2, v10, v2, vcc
	v_and_or_b32 v5, v8, s14, v5
	v_and_or_b32 v2, v3, s14, v2
	v_and_b32_e32 v3, 0xffff, v5
	v_lshl_or_b32 v2, v2, 16, v3
	global_store_dword v[11:12], v2, off
	global_load_dword v2, v[0:1], off offset:1044
	v_lshrrev_b32_e32 v3, 16, v6
	v_add_co_u32_e32 v9, vcc, s6, v11
	s_waitcnt vmcnt(0)
	v_mul_f16_sdwa v5, v3, v2 dst_sel:DWORD dst_unused:UNUSED_PAD src0_sel:DWORD src1_sel:WORD_1
	v_fma_f16 v5, v6, v2, v5
	v_mul_f16_sdwa v6, v6, v2 dst_sel:DWORD dst_unused:UNUSED_PAD src0_sel:DWORD src1_sel:WORD_1
	v_cvt_f32_f16_e32 v5, v5
	v_fma_f16 v2, v2, v3, -v6
	v_cvt_f32_f16_e32 v6, v2
	v_cvt_f64_f32_e32 v[2:3], v5
	v_cvt_f64_f32_e32 v[5:6], v6
	v_mul_f64 v[7:8], v[2:3], s[12:13]
	v_mov_b32_e32 v2, s7
	v_mul_f64 v[5:6], v[5:6], s[12:13]
	v_addc_co_u32_e32 v10, vcc, v12, v2, vcc
	v_and_or_b32 v3, v8, s15, v7
	v_cmp_ne_u32_e32 vcc, 0, v3
	v_and_or_b32 v5, v6, s15, v5
	v_lshrrev_b32_e32 v7, 8, v8
	v_bfe_u32 v11, v8, 20, 11
	v_cndmask_b32_e64 v3, 0, 1, vcc
	v_cmp_ne_u32_e32 vcc, 0, v5
	v_lshrrev_b32_e32 v12, 8, v6
	v_bfe_u32 v13, v6, 20, 11
	v_sub_u32_e32 v14, 0x3f1, v11
	v_cndmask_b32_e64 v5, 0, 1, vcc
	v_and_or_b32 v3, v7, s10, v3
	v_sub_u32_e32 v15, 0x3f1, v13
	v_med3_i32 v7, v14, 0, 13
	v_and_or_b32 v5, v12, s10, v5
	v_or_b32_e32 v14, 0x1000, v3
	v_add_u32_e32 v11, 0xfffffc10, v11
	v_med3_i32 v12, v15, 0, 13
	v_cmp_ne_u32_e32 vcc, 0, v3
	v_or_b32_e32 v16, 0x1000, v5
	v_lshrrev_b32_e32 v18, v7, v14
	v_add_u32_e32 v13, 0xfffffc10, v13
	v_lshl_or_b32 v15, v11, 12, v3
	v_cndmask_b32_e64 v3, 0, 1, vcc
	v_cmp_ne_u32_e32 vcc, 0, v5
	v_lshrrev_b32_e32 v19, v12, v16
	v_lshlrev_b32_e32 v7, v7, v18
	v_lshl_or_b32 v17, v13, 12, v5
	v_cndmask_b32_e64 v5, 0, 1, vcc
	v_lshlrev_b32_e32 v12, v12, v19
	v_cmp_ne_u32_e32 vcc, v7, v14
	v_cndmask_b32_e64 v7, 0, 1, vcc
	v_cmp_ne_u32_e32 vcc, v12, v16
	v_cndmask_b32_e64 v12, 0, 1, vcc
	v_or_b32_e32 v7, v18, v7
	v_cmp_gt_i32_e32 vcc, 1, v11
	v_cndmask_b32_e32 v7, v15, v7, vcc
	v_or_b32_e32 v12, v19, v12
	v_cmp_gt_i32_e32 vcc, 1, v13
	v_and_b32_e32 v14, 7, v7
	v_cndmask_b32_e32 v12, v17, v12, vcc
	v_cmp_lt_i32_e32 vcc, 5, v14
	v_cmp_eq_u32_e64 s[0:1], 3, v14
	v_lshrrev_b32_e32 v7, 2, v7
	v_and_b32_e32 v15, 7, v12
	s_or_b64 vcc, s[0:1], vcc
	v_cmp_lt_i32_e64 s[2:3], 5, v15
	v_cmp_eq_u32_e64 s[4:5], 3, v15
	v_addc_co_u32_e32 v7, vcc, 0, v7, vcc
	v_lshrrev_b32_e32 v12, 2, v12
	s_or_b64 vcc, s[4:5], s[2:3]
	v_addc_co_u32_e32 v12, vcc, 0, v12, vcc
	v_cmp_gt_i32_e32 vcc, 31, v11
	v_cndmask_b32_e32 v7, v4, v7, vcc
	v_cmp_gt_i32_e32 vcc, 31, v13
	v_lshl_or_b32 v3, v3, 9, v4
	v_cndmask_b32_e32 v12, v4, v12, vcc
	v_cmp_eq_u32_e32 vcc, s11, v11
	v_lshrrev_b32_e32 v8, 16, v8
	v_lshl_or_b32 v5, v5, 9, v4
	v_cndmask_b32_e32 v3, v7, v3, vcc
	v_cmp_eq_u32_e32 vcc, s11, v13
	v_lshrrev_b32_e32 v6, 16, v6
	v_cndmask_b32_e32 v5, v12, v5, vcc
	v_and_or_b32 v3, v8, s14, v3
	v_and_or_b32 v5, v6, s14, v5
	v_and_b32_e32 v3, 0xffff, v3
	v_lshl_or_b32 v3, v5, 16, v3
	global_store_dword v[9:10], v3, off
	global_load_dword v3, v[0:1], off offset:1692
	v_add_u32_e32 v5, 0x600, v63
	ds_read2_b32 v[5:6], v5 offset0:39 offset1:201
	v_add_co_u32_e32 v9, vcc, s6, v9
	v_addc_co_u32_e32 v10, vcc, v10, v2, vcc
	s_waitcnt lgkmcnt(0)
	v_lshrrev_b32_e32 v7, 16, v5
	s_waitcnt vmcnt(0)
	v_mul_f16_sdwa v8, v7, v3 dst_sel:DWORD dst_unused:UNUSED_PAD src0_sel:DWORD src1_sel:WORD_1
	v_fma_f16 v8, v5, v3, v8
	v_mul_f16_sdwa v5, v5, v3 dst_sel:DWORD dst_unused:UNUSED_PAD src0_sel:DWORD src1_sel:WORD_1
	v_cvt_f32_f16_e32 v8, v8
	v_fma_f16 v3, v3, v7, -v5
	v_cvt_f32_f16_e32 v3, v3
	v_cvt_f64_f32_e32 v[7:8], v8
	v_cvt_f64_f32_e32 v[11:12], v3
	v_mul_f64 v[7:8], v[7:8], s[12:13]
	v_mul_f64 v[11:12], v[11:12], s[12:13]
	v_and_or_b32 v3, v8, s15, v7
	v_cmp_ne_u32_e32 vcc, 0, v3
	v_and_or_b32 v11, v12, s15, v11
	v_lshrrev_b32_e32 v5, 8, v8
	v_bfe_u32 v7, v8, 20, 11
	v_cndmask_b32_e64 v3, 0, 1, vcc
	v_cmp_ne_u32_e32 vcc, 0, v11
	v_lshrrev_b32_e32 v13, 8, v12
	v_bfe_u32 v14, v12, 20, 11
	v_sub_u32_e32 v15, 0x3f1, v7
	v_cndmask_b32_e64 v11, 0, 1, vcc
	v_and_or_b32 v3, v5, s10, v3
	v_sub_u32_e32 v16, 0x3f1, v14
	v_med3_i32 v5, v15, 0, 13
	v_and_or_b32 v11, v13, s10, v11
	v_or_b32_e32 v15, 0x1000, v3
	v_add_u32_e32 v7, 0xfffffc10, v7
	v_med3_i32 v13, v16, 0, 13
	v_cmp_ne_u32_e32 vcc, 0, v3
	v_or_b32_e32 v17, 0x1000, v11
	v_lshrrev_b32_e32 v19, v5, v15
	v_add_u32_e32 v14, 0xfffffc10, v14
	v_lshl_or_b32 v16, v7, 12, v3
	v_cndmask_b32_e64 v3, 0, 1, vcc
	v_cmp_ne_u32_e32 vcc, 0, v11
	v_lshrrev_b32_e32 v20, v13, v17
	v_lshlrev_b32_e32 v5, v5, v19
	v_lshl_or_b32 v18, v14, 12, v11
	v_cndmask_b32_e64 v11, 0, 1, vcc
	v_lshlrev_b32_e32 v13, v13, v20
	v_cmp_ne_u32_e32 vcc, v5, v15
	v_cndmask_b32_e64 v5, 0, 1, vcc
	v_cmp_ne_u32_e32 vcc, v13, v17
	v_cndmask_b32_e64 v13, 0, 1, vcc
	v_or_b32_e32 v5, v19, v5
	v_cmp_gt_i32_e32 vcc, 1, v7
	v_cndmask_b32_e32 v5, v16, v5, vcc
	v_or_b32_e32 v13, v20, v13
	v_cmp_gt_i32_e32 vcc, 1, v14
	v_and_b32_e32 v15, 7, v5
	v_cndmask_b32_e32 v13, v18, v13, vcc
	v_cmp_lt_i32_e32 vcc, 5, v15
	v_cmp_eq_u32_e64 s[0:1], 3, v15
	v_lshrrev_b32_e32 v5, 2, v5
	v_and_b32_e32 v16, 7, v13
	s_or_b64 vcc, s[0:1], vcc
	v_cmp_lt_i32_e64 s[2:3], 5, v16
	v_cmp_eq_u32_e64 s[4:5], 3, v16
	v_addc_co_u32_e32 v5, vcc, 0, v5, vcc
	v_lshrrev_b32_e32 v13, 2, v13
	s_or_b64 vcc, s[4:5], s[2:3]
	v_addc_co_u32_e32 v13, vcc, 0, v13, vcc
	v_cmp_gt_i32_e32 vcc, 31, v7
	v_cndmask_b32_e32 v5, v4, v5, vcc
	v_cmp_gt_i32_e32 vcc, 31, v14
	v_lshl_or_b32 v3, v3, 9, v4
	v_cndmask_b32_e32 v13, v4, v13, vcc
	v_cmp_eq_u32_e32 vcc, s11, v7
	v_lshrrev_b32_e32 v8, 16, v8
	v_lshl_or_b32 v11, v11, 9, v4
	v_cndmask_b32_e32 v3, v5, v3, vcc
	v_cmp_eq_u32_e32 vcc, s11, v14
	v_lshrrev_b32_e32 v12, 16, v12
	v_cndmask_b32_e32 v5, v13, v11, vcc
	v_and_or_b32 v3, v8, s14, v3
	v_and_or_b32 v5, v12, s14, v5
	v_and_b32_e32 v3, 0xffff, v3
	v_lshl_or_b32 v3, v5, 16, v3
	global_store_dword v[9:10], v3, off
	global_load_dword v3, v[0:1], off offset:2340
	v_lshrrev_b32_e32 v5, 16, v6
	v_add_co_u32_e32 v9, vcc, s6, v9
	v_addc_co_u32_e32 v10, vcc, v10, v2, vcc
	s_waitcnt vmcnt(0)
	v_mul_f16_sdwa v7, v5, v3 dst_sel:DWORD dst_unused:UNUSED_PAD src0_sel:DWORD src1_sel:WORD_1
	v_fma_f16 v7, v6, v3, v7
	v_mul_f16_sdwa v6, v6, v3 dst_sel:DWORD dst_unused:UNUSED_PAD src0_sel:DWORD src1_sel:WORD_1
	v_cvt_f32_f16_e32 v7, v7
	v_fma_f16 v3, v3, v5, -v6
	v_cvt_f32_f16_e32 v3, v3
	v_cvt_f64_f32_e32 v[5:6], v7
	v_cvt_f64_f32_e32 v[7:8], v3
	v_mul_f64 v[5:6], v[5:6], s[12:13]
	v_mul_f64 v[7:8], v[7:8], s[12:13]
	v_and_or_b32 v3, v6, s15, v5
	v_cmp_ne_u32_e32 vcc, 0, v3
	v_and_or_b32 v7, v8, s15, v7
	v_lshrrev_b32_e32 v5, 8, v6
	v_bfe_u32 v11, v6, 20, 11
	v_cndmask_b32_e64 v3, 0, 1, vcc
	v_cmp_ne_u32_e32 vcc, 0, v7
	v_lshrrev_b32_e32 v12, 8, v8
	v_bfe_u32 v13, v8, 20, 11
	v_sub_u32_e32 v14, 0x3f1, v11
	v_cndmask_b32_e64 v7, 0, 1, vcc
	v_and_or_b32 v3, v5, s10, v3
	v_sub_u32_e32 v15, 0x3f1, v13
	v_med3_i32 v5, v14, 0, 13
	v_and_or_b32 v7, v12, s10, v7
	v_or_b32_e32 v14, 0x1000, v3
	v_add_u32_e32 v11, 0xfffffc10, v11
	v_med3_i32 v12, v15, 0, 13
	v_cmp_ne_u32_e32 vcc, 0, v3
	v_or_b32_e32 v16, 0x1000, v7
	v_lshrrev_b32_e32 v18, v5, v14
	v_add_u32_e32 v13, 0xfffffc10, v13
	v_lshl_or_b32 v15, v11, 12, v3
	v_cndmask_b32_e64 v3, 0, 1, vcc
	v_cmp_ne_u32_e32 vcc, 0, v7
	v_lshrrev_b32_e32 v19, v12, v16
	v_lshlrev_b32_e32 v5, v5, v18
	v_lshl_or_b32 v17, v13, 12, v7
	v_cndmask_b32_e64 v7, 0, 1, vcc
	v_lshlrev_b32_e32 v12, v12, v19
	v_cmp_ne_u32_e32 vcc, v5, v14
	v_cndmask_b32_e64 v5, 0, 1, vcc
	v_cmp_ne_u32_e32 vcc, v12, v16
	v_cndmask_b32_e64 v12, 0, 1, vcc
	v_or_b32_e32 v5, v18, v5
	v_cmp_gt_i32_e32 vcc, 1, v11
	v_cndmask_b32_e32 v5, v15, v5, vcc
	v_or_b32_e32 v12, v19, v12
	v_cmp_gt_i32_e32 vcc, 1, v13
	v_and_b32_e32 v14, 7, v5
	v_cndmask_b32_e32 v12, v17, v12, vcc
	v_cmp_lt_i32_e32 vcc, 5, v14
	v_cmp_eq_u32_e64 s[0:1], 3, v14
	v_lshrrev_b32_e32 v5, 2, v5
	v_and_b32_e32 v15, 7, v12
	s_or_b64 vcc, s[0:1], vcc
	v_cmp_lt_i32_e64 s[2:3], 5, v15
	v_cmp_eq_u32_e64 s[4:5], 3, v15
	v_addc_co_u32_e32 v5, vcc, 0, v5, vcc
	v_lshrrev_b32_e32 v12, 2, v12
	s_or_b64 vcc, s[4:5], s[2:3]
	v_addc_co_u32_e32 v12, vcc, 0, v12, vcc
	v_cmp_gt_i32_e32 vcc, 31, v11
	v_cndmask_b32_e32 v5, v4, v5, vcc
	v_cmp_gt_i32_e32 vcc, 31, v13
	v_lshl_or_b32 v3, v3, 9, v4
	v_cndmask_b32_e32 v12, v4, v12, vcc
	v_cmp_eq_u32_e32 vcc, s11, v11
	v_lshrrev_b32_e32 v6, 16, v6
	v_lshl_or_b32 v7, v7, 9, v4
	v_cndmask_b32_e32 v3, v5, v3, vcc
	v_cmp_eq_u32_e32 vcc, s11, v13
	v_lshrrev_b32_e32 v8, 16, v8
	v_cndmask_b32_e32 v5, v12, v7, vcc
	v_and_or_b32 v3, v6, s14, v3
	v_and_or_b32 v5, v8, s14, v5
	v_and_b32_e32 v3, 0xffff, v3
	v_lshl_or_b32 v3, v5, 16, v3
	global_store_dword v[9:10], v3, off
	global_load_dword v3, v[0:1], off offset:2988
	v_add_u32_e32 v5, 0xb00, v63
	ds_read2_b32 v[5:6], v5 offset0:43 offset1:205
	v_add_co_u32_e32 v9, vcc, s6, v9
	v_addc_co_u32_e32 v10, vcc, v10, v2, vcc
	s_waitcnt lgkmcnt(0)
	v_lshrrev_b32_e32 v7, 16, v5
	s_waitcnt vmcnt(0)
	v_mul_f16_sdwa v8, v7, v3 dst_sel:DWORD dst_unused:UNUSED_PAD src0_sel:DWORD src1_sel:WORD_1
	v_fma_f16 v8, v5, v3, v8
	v_mul_f16_sdwa v5, v5, v3 dst_sel:DWORD dst_unused:UNUSED_PAD src0_sel:DWORD src1_sel:WORD_1
	v_cvt_f32_f16_e32 v8, v8
	v_fma_f16 v3, v3, v7, -v5
	v_cvt_f32_f16_e32 v3, v3
	v_cvt_f64_f32_e32 v[7:8], v8
	v_cvt_f64_f32_e32 v[11:12], v3
	v_mul_f64 v[7:8], v[7:8], s[12:13]
	v_mul_f64 v[11:12], v[11:12], s[12:13]
	v_and_or_b32 v3, v8, s15, v7
	v_cmp_ne_u32_e32 vcc, 0, v3
	v_and_or_b32 v11, v12, s15, v11
	v_lshrrev_b32_e32 v5, 8, v8
	v_bfe_u32 v7, v8, 20, 11
	v_cndmask_b32_e64 v3, 0, 1, vcc
	v_cmp_ne_u32_e32 vcc, 0, v11
	v_lshrrev_b32_e32 v13, 8, v12
	v_bfe_u32 v14, v12, 20, 11
	v_sub_u32_e32 v15, 0x3f1, v7
	v_cndmask_b32_e64 v11, 0, 1, vcc
	v_and_or_b32 v3, v5, s10, v3
	v_sub_u32_e32 v16, 0x3f1, v14
	v_med3_i32 v5, v15, 0, 13
	v_and_or_b32 v11, v13, s10, v11
	v_or_b32_e32 v15, 0x1000, v3
	v_add_u32_e32 v7, 0xfffffc10, v7
	v_med3_i32 v13, v16, 0, 13
	v_cmp_ne_u32_e32 vcc, 0, v3
	v_or_b32_e32 v17, 0x1000, v11
	v_lshrrev_b32_e32 v19, v5, v15
	v_add_u32_e32 v14, 0xfffffc10, v14
	v_lshl_or_b32 v16, v7, 12, v3
	v_cndmask_b32_e64 v3, 0, 1, vcc
	v_cmp_ne_u32_e32 vcc, 0, v11
	v_lshrrev_b32_e32 v20, v13, v17
	v_lshlrev_b32_e32 v5, v5, v19
	v_lshl_or_b32 v18, v14, 12, v11
	v_cndmask_b32_e64 v11, 0, 1, vcc
	v_lshlrev_b32_e32 v13, v13, v20
	v_cmp_ne_u32_e32 vcc, v5, v15
	v_cndmask_b32_e64 v5, 0, 1, vcc
	v_cmp_ne_u32_e32 vcc, v13, v17
	v_cndmask_b32_e64 v13, 0, 1, vcc
	v_or_b32_e32 v5, v19, v5
	v_cmp_gt_i32_e32 vcc, 1, v7
	v_cndmask_b32_e32 v5, v16, v5, vcc
	v_or_b32_e32 v13, v20, v13
	v_cmp_gt_i32_e32 vcc, 1, v14
	v_and_b32_e32 v15, 7, v5
	v_cndmask_b32_e32 v13, v18, v13, vcc
	v_cmp_lt_i32_e32 vcc, 5, v15
	v_cmp_eq_u32_e64 s[0:1], 3, v15
	v_lshrrev_b32_e32 v5, 2, v5
	v_and_b32_e32 v16, 7, v13
	s_or_b64 vcc, s[0:1], vcc
	v_cmp_lt_i32_e64 s[2:3], 5, v16
	v_cmp_eq_u32_e64 s[4:5], 3, v16
	v_addc_co_u32_e32 v5, vcc, 0, v5, vcc
	v_lshrrev_b32_e32 v13, 2, v13
	s_or_b64 vcc, s[4:5], s[2:3]
	v_addc_co_u32_e32 v13, vcc, 0, v13, vcc
	v_cmp_gt_i32_e32 vcc, 31, v7
	v_cndmask_b32_e32 v5, v4, v5, vcc
	v_cmp_gt_i32_e32 vcc, 31, v14
	v_lshl_or_b32 v3, v3, 9, v4
	v_cndmask_b32_e32 v13, v4, v13, vcc
	v_cmp_eq_u32_e32 vcc, s11, v7
	v_lshrrev_b32_e32 v8, 16, v8
	v_lshl_or_b32 v11, v11, 9, v4
	v_cndmask_b32_e32 v3, v5, v3, vcc
	v_cmp_eq_u32_e32 vcc, s11, v14
	v_lshrrev_b32_e32 v12, 16, v12
	v_cndmask_b32_e32 v5, v13, v11, vcc
	v_and_or_b32 v3, v8, s14, v3
	v_and_or_b32 v5, v12, s14, v5
	v_and_b32_e32 v3, 0xffff, v3
	v_lshl_or_b32 v3, v5, 16, v3
	global_store_dword v[9:10], v3, off
	global_load_dword v3, v[0:1], off offset:3636
	v_lshrrev_b32_e32 v5, 16, v6
	v_add_co_u32_e32 v0, vcc, s16, v0
	v_addc_co_u32_e32 v1, vcc, 0, v1, vcc
	v_add_co_u32_e32 v9, vcc, s6, v9
	v_addc_co_u32_e32 v10, vcc, v10, v2, vcc
	s_waitcnt vmcnt(0)
	v_mul_f16_sdwa v7, v5, v3 dst_sel:DWORD dst_unused:UNUSED_PAD src0_sel:DWORD src1_sel:WORD_1
	v_fma_f16 v7, v6, v3, v7
	v_mul_f16_sdwa v6, v6, v3 dst_sel:DWORD dst_unused:UNUSED_PAD src0_sel:DWORD src1_sel:WORD_1
	v_cvt_f32_f16_e32 v7, v7
	v_fma_f16 v3, v3, v5, -v6
	v_cvt_f32_f16_e32 v3, v3
	v_cvt_f64_f32_e32 v[5:6], v7
	v_cvt_f64_f32_e32 v[7:8], v3
	v_mul_f64 v[5:6], v[5:6], s[12:13]
	v_mul_f64 v[7:8], v[7:8], s[12:13]
	v_and_or_b32 v3, v6, s15, v5
	v_cmp_ne_u32_e32 vcc, 0, v3
	v_and_or_b32 v7, v8, s15, v7
	v_lshrrev_b32_e32 v5, 8, v6
	v_bfe_u32 v11, v6, 20, 11
	v_cndmask_b32_e64 v3, 0, 1, vcc
	v_cmp_ne_u32_e32 vcc, 0, v7
	v_lshrrev_b32_e32 v12, 8, v8
	v_bfe_u32 v13, v8, 20, 11
	v_sub_u32_e32 v14, 0x3f1, v11
	v_cndmask_b32_e64 v7, 0, 1, vcc
	v_and_or_b32 v3, v5, s10, v3
	v_sub_u32_e32 v15, 0x3f1, v13
	v_med3_i32 v5, v14, 0, 13
	v_and_or_b32 v7, v12, s10, v7
	v_or_b32_e32 v14, 0x1000, v3
	v_add_u32_e32 v11, 0xfffffc10, v11
	v_med3_i32 v12, v15, 0, 13
	v_cmp_ne_u32_e32 vcc, 0, v3
	v_or_b32_e32 v16, 0x1000, v7
	v_lshrrev_b32_e32 v18, v5, v14
	v_add_u32_e32 v13, 0xfffffc10, v13
	v_lshl_or_b32 v15, v11, 12, v3
	v_cndmask_b32_e64 v3, 0, 1, vcc
	v_cmp_ne_u32_e32 vcc, 0, v7
	v_lshrrev_b32_e32 v19, v12, v16
	v_lshlrev_b32_e32 v5, v5, v18
	v_lshl_or_b32 v17, v13, 12, v7
	v_cndmask_b32_e64 v7, 0, 1, vcc
	v_lshlrev_b32_e32 v12, v12, v19
	v_cmp_ne_u32_e32 vcc, v5, v14
	v_cndmask_b32_e64 v5, 0, 1, vcc
	v_cmp_ne_u32_e32 vcc, v12, v16
	v_cndmask_b32_e64 v12, 0, 1, vcc
	v_or_b32_e32 v5, v18, v5
	v_cmp_gt_i32_e32 vcc, 1, v11
	v_cndmask_b32_e32 v5, v15, v5, vcc
	v_or_b32_e32 v12, v19, v12
	v_cmp_gt_i32_e32 vcc, 1, v13
	v_and_b32_e32 v14, 7, v5
	v_cndmask_b32_e32 v12, v17, v12, vcc
	v_cmp_lt_i32_e32 vcc, 5, v14
	v_cmp_eq_u32_e64 s[0:1], 3, v14
	v_lshrrev_b32_e32 v5, 2, v5
	v_and_b32_e32 v15, 7, v12
	s_or_b64 vcc, s[0:1], vcc
	v_cmp_lt_i32_e64 s[2:3], 5, v15
	v_cmp_eq_u32_e64 s[4:5], 3, v15
	v_addc_co_u32_e32 v5, vcc, 0, v5, vcc
	v_lshrrev_b32_e32 v12, 2, v12
	s_or_b64 vcc, s[4:5], s[2:3]
	v_addc_co_u32_e32 v12, vcc, 0, v12, vcc
	v_cmp_gt_i32_e32 vcc, 31, v11
	v_cndmask_b32_e32 v5, v4, v5, vcc
	v_cmp_gt_i32_e32 vcc, 31, v13
	v_lshl_or_b32 v3, v3, 9, v4
	v_cndmask_b32_e32 v12, v4, v12, vcc
	v_cmp_eq_u32_e32 vcc, s11, v11
	v_lshrrev_b32_e32 v6, 16, v6
	v_lshl_or_b32 v7, v7, 9, v4
	v_cndmask_b32_e32 v3, v5, v3, vcc
	v_cmp_eq_u32_e32 vcc, s11, v13
	v_lshrrev_b32_e32 v8, 16, v8
	v_cndmask_b32_e32 v5, v12, v7, vcc
	v_and_or_b32 v3, v6, s14, v3
	v_and_or_b32 v5, v8, s14, v5
	v_and_b32_e32 v3, 0xffff, v3
	v_lshl_or_b32 v3, v5, 16, v3
	global_store_dword v[9:10], v3, off
	global_load_dword v3, v[0:1], off offset:188
	v_add_u32_e32 v5, 0x1000, v63
	ds_read2_b32 v[5:6], v5 offset0:47 offset1:209
	v_add_co_u32_e32 v9, vcc, s6, v9
	v_addc_co_u32_e32 v10, vcc, v10, v2, vcc
	s_waitcnt lgkmcnt(0)
	v_lshrrev_b32_e32 v7, 16, v5
	s_waitcnt vmcnt(0)
	v_mul_f16_sdwa v8, v7, v3 dst_sel:DWORD dst_unused:UNUSED_PAD src0_sel:DWORD src1_sel:WORD_1
	v_fma_f16 v8, v5, v3, v8
	v_mul_f16_sdwa v5, v5, v3 dst_sel:DWORD dst_unused:UNUSED_PAD src0_sel:DWORD src1_sel:WORD_1
	v_cvt_f32_f16_e32 v8, v8
	v_fma_f16 v3, v3, v7, -v5
	v_cvt_f32_f16_e32 v3, v3
	v_cvt_f64_f32_e32 v[7:8], v8
	v_cvt_f64_f32_e32 v[11:12], v3
	v_mul_f64 v[7:8], v[7:8], s[12:13]
	v_mul_f64 v[11:12], v[11:12], s[12:13]
	v_and_or_b32 v3, v8, s15, v7
	v_cmp_ne_u32_e32 vcc, 0, v3
	v_and_or_b32 v11, v12, s15, v11
	v_lshrrev_b32_e32 v5, 8, v8
	v_bfe_u32 v7, v8, 20, 11
	v_cndmask_b32_e64 v3, 0, 1, vcc
	v_cmp_ne_u32_e32 vcc, 0, v11
	v_lshrrev_b32_e32 v13, 8, v12
	v_bfe_u32 v14, v12, 20, 11
	v_sub_u32_e32 v15, 0x3f1, v7
	v_cndmask_b32_e64 v11, 0, 1, vcc
	v_and_or_b32 v3, v5, s10, v3
	v_sub_u32_e32 v16, 0x3f1, v14
	v_med3_i32 v5, v15, 0, 13
	v_and_or_b32 v11, v13, s10, v11
	v_or_b32_e32 v15, 0x1000, v3
	v_add_u32_e32 v7, 0xfffffc10, v7
	v_med3_i32 v13, v16, 0, 13
	v_cmp_ne_u32_e32 vcc, 0, v3
	v_or_b32_e32 v17, 0x1000, v11
	v_lshrrev_b32_e32 v19, v5, v15
	v_add_u32_e32 v14, 0xfffffc10, v14
	v_lshl_or_b32 v16, v7, 12, v3
	v_cndmask_b32_e64 v3, 0, 1, vcc
	v_cmp_ne_u32_e32 vcc, 0, v11
	v_lshrrev_b32_e32 v20, v13, v17
	v_lshlrev_b32_e32 v5, v5, v19
	v_lshl_or_b32 v18, v14, 12, v11
	v_cndmask_b32_e64 v11, 0, 1, vcc
	v_lshlrev_b32_e32 v13, v13, v20
	v_cmp_ne_u32_e32 vcc, v5, v15
	v_cndmask_b32_e64 v5, 0, 1, vcc
	v_cmp_ne_u32_e32 vcc, v13, v17
	v_cndmask_b32_e64 v13, 0, 1, vcc
	v_or_b32_e32 v5, v19, v5
	v_cmp_gt_i32_e32 vcc, 1, v7
	v_cndmask_b32_e32 v5, v16, v5, vcc
	v_or_b32_e32 v13, v20, v13
	v_cmp_gt_i32_e32 vcc, 1, v14
	v_and_b32_e32 v15, 7, v5
	v_cndmask_b32_e32 v13, v18, v13, vcc
	v_cmp_lt_i32_e32 vcc, 5, v15
	v_cmp_eq_u32_e64 s[0:1], 3, v15
	v_lshrrev_b32_e32 v5, 2, v5
	v_and_b32_e32 v16, 7, v13
	s_or_b64 vcc, s[0:1], vcc
	v_cmp_lt_i32_e64 s[2:3], 5, v16
	v_cmp_eq_u32_e64 s[4:5], 3, v16
	v_addc_co_u32_e32 v5, vcc, 0, v5, vcc
	v_lshrrev_b32_e32 v13, 2, v13
	s_or_b64 vcc, s[4:5], s[2:3]
	v_addc_co_u32_e32 v13, vcc, 0, v13, vcc
	v_cmp_gt_i32_e32 vcc, 31, v7
	v_cndmask_b32_e32 v5, v4, v5, vcc
	v_cmp_gt_i32_e32 vcc, 31, v14
	v_lshl_or_b32 v3, v3, 9, v4
	v_cndmask_b32_e32 v13, v4, v13, vcc
	v_cmp_eq_u32_e32 vcc, s11, v7
	v_lshrrev_b32_e32 v8, 16, v8
	v_lshl_or_b32 v11, v11, 9, v4
	v_cndmask_b32_e32 v3, v5, v3, vcc
	v_cmp_eq_u32_e32 vcc, s11, v14
	v_lshrrev_b32_e32 v12, 16, v12
	v_cndmask_b32_e32 v5, v13, v11, vcc
	v_and_or_b32 v3, v8, s14, v3
	v_and_or_b32 v5, v12, s14, v5
	v_and_b32_e32 v3, 0xffff, v3
	v_lshl_or_b32 v3, v5, 16, v3
	global_store_dword v[9:10], v3, off
	global_load_dword v3, v[0:1], off offset:836
	v_lshrrev_b32_e32 v5, 16, v6
	v_add_co_u32_e32 v9, vcc, s6, v9
	v_addc_co_u32_e32 v10, vcc, v10, v2, vcc
	s_waitcnt vmcnt(0)
	v_mul_f16_sdwa v7, v5, v3 dst_sel:DWORD dst_unused:UNUSED_PAD src0_sel:DWORD src1_sel:WORD_1
	v_fma_f16 v7, v6, v3, v7
	v_mul_f16_sdwa v6, v6, v3 dst_sel:DWORD dst_unused:UNUSED_PAD src0_sel:DWORD src1_sel:WORD_1
	v_cvt_f32_f16_e32 v7, v7
	v_fma_f16 v3, v3, v5, -v6
	v_cvt_f32_f16_e32 v3, v3
	v_cvt_f64_f32_e32 v[5:6], v7
	v_cvt_f64_f32_e32 v[7:8], v3
	v_mul_f64 v[5:6], v[5:6], s[12:13]
	v_mul_f64 v[7:8], v[7:8], s[12:13]
	v_and_or_b32 v3, v6, s15, v5
	v_cmp_ne_u32_e32 vcc, 0, v3
	v_and_or_b32 v7, v8, s15, v7
	v_lshrrev_b32_e32 v5, 8, v6
	v_bfe_u32 v11, v6, 20, 11
	v_cndmask_b32_e64 v3, 0, 1, vcc
	v_cmp_ne_u32_e32 vcc, 0, v7
	v_lshrrev_b32_e32 v12, 8, v8
	v_bfe_u32 v13, v8, 20, 11
	v_sub_u32_e32 v14, 0x3f1, v11
	v_cndmask_b32_e64 v7, 0, 1, vcc
	v_and_or_b32 v3, v5, s10, v3
	v_sub_u32_e32 v15, 0x3f1, v13
	v_med3_i32 v5, v14, 0, 13
	v_and_or_b32 v7, v12, s10, v7
	v_or_b32_e32 v14, 0x1000, v3
	v_add_u32_e32 v11, 0xfffffc10, v11
	v_med3_i32 v12, v15, 0, 13
	v_cmp_ne_u32_e32 vcc, 0, v3
	v_or_b32_e32 v16, 0x1000, v7
	v_lshrrev_b32_e32 v18, v5, v14
	v_add_u32_e32 v13, 0xfffffc10, v13
	v_lshl_or_b32 v15, v11, 12, v3
	v_cndmask_b32_e64 v3, 0, 1, vcc
	v_cmp_ne_u32_e32 vcc, 0, v7
	v_lshrrev_b32_e32 v19, v12, v16
	v_lshlrev_b32_e32 v5, v5, v18
	v_lshl_or_b32 v17, v13, 12, v7
	v_cndmask_b32_e64 v7, 0, 1, vcc
	v_lshlrev_b32_e32 v12, v12, v19
	v_cmp_ne_u32_e32 vcc, v5, v14
	v_cndmask_b32_e64 v5, 0, 1, vcc
	v_cmp_ne_u32_e32 vcc, v12, v16
	v_cndmask_b32_e64 v12, 0, 1, vcc
	v_or_b32_e32 v5, v18, v5
	v_cmp_gt_i32_e32 vcc, 1, v11
	v_cndmask_b32_e32 v5, v15, v5, vcc
	v_or_b32_e32 v12, v19, v12
	v_cmp_gt_i32_e32 vcc, 1, v13
	v_and_b32_e32 v14, 7, v5
	v_cndmask_b32_e32 v12, v17, v12, vcc
	v_cmp_lt_i32_e32 vcc, 5, v14
	v_cmp_eq_u32_e64 s[0:1], 3, v14
	v_lshrrev_b32_e32 v5, 2, v5
	v_and_b32_e32 v15, 7, v12
	s_or_b64 vcc, s[0:1], vcc
	v_cmp_lt_i32_e64 s[2:3], 5, v15
	v_cmp_eq_u32_e64 s[4:5], 3, v15
	v_addc_co_u32_e32 v5, vcc, 0, v5, vcc
	v_lshrrev_b32_e32 v12, 2, v12
	s_or_b64 vcc, s[4:5], s[2:3]
	v_addc_co_u32_e32 v12, vcc, 0, v12, vcc
	v_cmp_gt_i32_e32 vcc, 31, v11
	v_cndmask_b32_e32 v5, v4, v5, vcc
	v_cmp_gt_i32_e32 vcc, 31, v13
	v_lshl_or_b32 v3, v3, 9, v4
	v_cndmask_b32_e32 v12, v4, v12, vcc
	v_cmp_eq_u32_e32 vcc, s11, v11
	v_lshrrev_b32_e32 v6, 16, v6
	v_lshl_or_b32 v7, v7, 9, v4
	v_cndmask_b32_e32 v3, v5, v3, vcc
	v_cmp_eq_u32_e32 vcc, s11, v13
	v_lshrrev_b32_e32 v8, 16, v8
	v_cndmask_b32_e32 v5, v12, v7, vcc
	v_and_or_b32 v3, v6, s14, v3
	v_and_or_b32 v5, v8, s14, v5
	v_and_b32_e32 v3, 0xffff, v3
	v_lshl_or_b32 v3, v5, 16, v3
	global_store_dword v[9:10], v3, off
	global_load_dword v3, v[0:1], off offset:1484
	v_add_u32_e32 v5, 0x1500, v63
	ds_read2_b32 v[5:6], v5 offset0:51 offset1:213
	v_add_co_u32_e32 v9, vcc, s6, v9
	v_addc_co_u32_e32 v10, vcc, v10, v2, vcc
	s_waitcnt lgkmcnt(0)
	v_lshrrev_b32_e32 v7, 16, v5
	s_waitcnt vmcnt(0)
	v_mul_f16_sdwa v8, v7, v3 dst_sel:DWORD dst_unused:UNUSED_PAD src0_sel:DWORD src1_sel:WORD_1
	v_fma_f16 v8, v5, v3, v8
	v_mul_f16_sdwa v5, v5, v3 dst_sel:DWORD dst_unused:UNUSED_PAD src0_sel:DWORD src1_sel:WORD_1
	v_cvt_f32_f16_e32 v8, v8
	v_fma_f16 v3, v3, v7, -v5
	v_cvt_f32_f16_e32 v3, v3
	v_cvt_f64_f32_e32 v[7:8], v8
	v_cvt_f64_f32_e32 v[11:12], v3
	v_mul_f64 v[7:8], v[7:8], s[12:13]
	v_mul_f64 v[11:12], v[11:12], s[12:13]
	v_and_or_b32 v3, v8, s15, v7
	v_cmp_ne_u32_e32 vcc, 0, v3
	v_and_or_b32 v11, v12, s15, v11
	v_lshrrev_b32_e32 v5, 8, v8
	v_bfe_u32 v7, v8, 20, 11
	v_cndmask_b32_e64 v3, 0, 1, vcc
	v_cmp_ne_u32_e32 vcc, 0, v11
	v_lshrrev_b32_e32 v13, 8, v12
	v_bfe_u32 v14, v12, 20, 11
	v_sub_u32_e32 v15, 0x3f1, v7
	v_cndmask_b32_e64 v11, 0, 1, vcc
	v_and_or_b32 v3, v5, s10, v3
	v_sub_u32_e32 v16, 0x3f1, v14
	v_med3_i32 v5, v15, 0, 13
	v_and_or_b32 v11, v13, s10, v11
	v_or_b32_e32 v15, 0x1000, v3
	v_add_u32_e32 v7, 0xfffffc10, v7
	v_med3_i32 v13, v16, 0, 13
	v_cmp_ne_u32_e32 vcc, 0, v3
	v_or_b32_e32 v17, 0x1000, v11
	v_lshrrev_b32_e32 v19, v5, v15
	v_add_u32_e32 v14, 0xfffffc10, v14
	v_lshl_or_b32 v16, v7, 12, v3
	v_cndmask_b32_e64 v3, 0, 1, vcc
	v_cmp_ne_u32_e32 vcc, 0, v11
	v_lshrrev_b32_e32 v20, v13, v17
	v_lshlrev_b32_e32 v5, v5, v19
	v_lshl_or_b32 v18, v14, 12, v11
	v_cndmask_b32_e64 v11, 0, 1, vcc
	v_lshlrev_b32_e32 v13, v13, v20
	v_cmp_ne_u32_e32 vcc, v5, v15
	v_cndmask_b32_e64 v5, 0, 1, vcc
	v_cmp_ne_u32_e32 vcc, v13, v17
	v_cndmask_b32_e64 v13, 0, 1, vcc
	v_or_b32_e32 v5, v19, v5
	v_cmp_gt_i32_e32 vcc, 1, v7
	v_cndmask_b32_e32 v5, v16, v5, vcc
	v_or_b32_e32 v13, v20, v13
	v_cmp_gt_i32_e32 vcc, 1, v14
	v_and_b32_e32 v15, 7, v5
	v_cndmask_b32_e32 v13, v18, v13, vcc
	v_cmp_lt_i32_e32 vcc, 5, v15
	v_cmp_eq_u32_e64 s[0:1], 3, v15
	v_lshrrev_b32_e32 v5, 2, v5
	v_and_b32_e32 v16, 7, v13
	s_or_b64 vcc, s[0:1], vcc
	v_cmp_lt_i32_e64 s[2:3], 5, v16
	v_cmp_eq_u32_e64 s[4:5], 3, v16
	v_addc_co_u32_e32 v5, vcc, 0, v5, vcc
	v_lshrrev_b32_e32 v13, 2, v13
	s_or_b64 vcc, s[4:5], s[2:3]
	v_addc_co_u32_e32 v13, vcc, 0, v13, vcc
	v_cmp_gt_i32_e32 vcc, 31, v7
	v_cndmask_b32_e32 v5, v4, v5, vcc
	v_cmp_gt_i32_e32 vcc, 31, v14
	v_lshl_or_b32 v3, v3, 9, v4
	v_cndmask_b32_e32 v13, v4, v13, vcc
	v_cmp_eq_u32_e32 vcc, s11, v7
	v_lshrrev_b32_e32 v8, 16, v8
	v_lshl_or_b32 v11, v11, 9, v4
	v_cndmask_b32_e32 v3, v5, v3, vcc
	v_cmp_eq_u32_e32 vcc, s11, v14
	v_lshrrev_b32_e32 v12, 16, v12
	v_cndmask_b32_e32 v5, v13, v11, vcc
	v_and_or_b32 v3, v8, s14, v3
	v_and_or_b32 v5, v12, s14, v5
	v_and_b32_e32 v3, 0xffff, v3
	v_lshl_or_b32 v3, v5, 16, v3
	global_store_dword v[9:10], v3, off
	global_load_dword v3, v[0:1], off offset:2132
	v_lshrrev_b32_e32 v5, 16, v6
	v_add_co_u32_e32 v9, vcc, s6, v9
	v_addc_co_u32_e32 v10, vcc, v10, v2, vcc
	s_waitcnt vmcnt(0)
	v_mul_f16_sdwa v7, v5, v3 dst_sel:DWORD dst_unused:UNUSED_PAD src0_sel:DWORD src1_sel:WORD_1
	v_fma_f16 v7, v6, v3, v7
	v_mul_f16_sdwa v6, v6, v3 dst_sel:DWORD dst_unused:UNUSED_PAD src0_sel:DWORD src1_sel:WORD_1
	v_cvt_f32_f16_e32 v7, v7
	v_fma_f16 v3, v3, v5, -v6
	v_cvt_f32_f16_e32 v3, v3
	v_cvt_f64_f32_e32 v[5:6], v7
	v_cvt_f64_f32_e32 v[7:8], v3
	v_mul_f64 v[5:6], v[5:6], s[12:13]
	v_mul_f64 v[7:8], v[7:8], s[12:13]
	v_and_or_b32 v3, v6, s15, v5
	v_cmp_ne_u32_e32 vcc, 0, v3
	v_and_or_b32 v7, v8, s15, v7
	v_lshrrev_b32_e32 v5, 8, v6
	v_bfe_u32 v11, v6, 20, 11
	v_cndmask_b32_e64 v3, 0, 1, vcc
	v_cmp_ne_u32_e32 vcc, 0, v7
	v_lshrrev_b32_e32 v12, 8, v8
	v_bfe_u32 v13, v8, 20, 11
	v_sub_u32_e32 v14, 0x3f1, v11
	v_cndmask_b32_e64 v7, 0, 1, vcc
	v_and_or_b32 v3, v5, s10, v3
	v_sub_u32_e32 v15, 0x3f1, v13
	v_med3_i32 v5, v14, 0, 13
	v_and_or_b32 v7, v12, s10, v7
	v_or_b32_e32 v14, 0x1000, v3
	v_add_u32_e32 v11, 0xfffffc10, v11
	v_med3_i32 v12, v15, 0, 13
	v_cmp_ne_u32_e32 vcc, 0, v3
	v_or_b32_e32 v16, 0x1000, v7
	v_lshrrev_b32_e32 v18, v5, v14
	v_add_u32_e32 v13, 0xfffffc10, v13
	v_lshl_or_b32 v15, v11, 12, v3
	v_cndmask_b32_e64 v3, 0, 1, vcc
	v_cmp_ne_u32_e32 vcc, 0, v7
	v_lshrrev_b32_e32 v19, v12, v16
	v_lshlrev_b32_e32 v5, v5, v18
	v_lshl_or_b32 v17, v13, 12, v7
	v_cndmask_b32_e64 v7, 0, 1, vcc
	v_lshlrev_b32_e32 v12, v12, v19
	v_cmp_ne_u32_e32 vcc, v5, v14
	v_cndmask_b32_e64 v5, 0, 1, vcc
	v_cmp_ne_u32_e32 vcc, v12, v16
	v_cndmask_b32_e64 v12, 0, 1, vcc
	v_or_b32_e32 v5, v18, v5
	v_cmp_gt_i32_e32 vcc, 1, v11
	v_cndmask_b32_e32 v5, v15, v5, vcc
	v_or_b32_e32 v12, v19, v12
	v_cmp_gt_i32_e32 vcc, 1, v13
	v_and_b32_e32 v14, 7, v5
	v_cndmask_b32_e32 v12, v17, v12, vcc
	v_cmp_lt_i32_e32 vcc, 5, v14
	v_cmp_eq_u32_e64 s[0:1], 3, v14
	v_lshrrev_b32_e32 v5, 2, v5
	v_and_b32_e32 v15, 7, v12
	s_or_b64 vcc, s[0:1], vcc
	v_cmp_lt_i32_e64 s[2:3], 5, v15
	v_cmp_eq_u32_e64 s[4:5], 3, v15
	v_addc_co_u32_e32 v5, vcc, 0, v5, vcc
	v_lshrrev_b32_e32 v12, 2, v12
	s_or_b64 vcc, s[4:5], s[2:3]
	v_addc_co_u32_e32 v12, vcc, 0, v12, vcc
	v_cmp_gt_i32_e32 vcc, 31, v11
	v_cndmask_b32_e32 v5, v4, v5, vcc
	v_cmp_gt_i32_e32 vcc, 31, v13
	v_lshl_or_b32 v3, v3, 9, v4
	v_cndmask_b32_e32 v12, v4, v12, vcc
	v_cmp_eq_u32_e32 vcc, s11, v11
	v_lshrrev_b32_e32 v6, 16, v6
	v_lshl_or_b32 v7, v7, 9, v4
	v_cndmask_b32_e32 v3, v5, v3, vcc
	v_cmp_eq_u32_e32 vcc, s11, v13
	v_lshrrev_b32_e32 v8, 16, v8
	v_cndmask_b32_e32 v5, v12, v7, vcc
	v_and_or_b32 v3, v6, s14, v3
	v_and_or_b32 v5, v8, s14, v5
	v_and_b32_e32 v3, 0xffff, v3
	v_lshl_or_b32 v3, v5, 16, v3
	global_store_dword v[9:10], v3, off
	global_load_dword v0, v[0:1], off offset:2780
	ds_read_b32 v1, v63 offset:6876
	s_waitcnt lgkmcnt(0)
	v_lshrrev_b32_e32 v3, 16, v1
	s_waitcnt vmcnt(0)
	v_mul_f16_sdwa v5, v3, v0 dst_sel:DWORD dst_unused:UNUSED_PAD src0_sel:DWORD src1_sel:WORD_1
	v_fma_f16 v5, v1, v0, v5
	v_mul_f16_sdwa v1, v1, v0 dst_sel:DWORD dst_unused:UNUSED_PAD src0_sel:DWORD src1_sel:WORD_1
	v_cvt_f32_f16_e32 v5, v5
	v_fma_f16 v0, v0, v3, -v1
	v_cvt_f32_f16_e32 v3, v0
	v_cvt_f64_f32_e32 v[0:1], v5
	v_cvt_f64_f32_e32 v[5:6], v3
	v_mul_f64 v[0:1], v[0:1], s[12:13]
	v_mul_f64 v[5:6], v[5:6], s[12:13]
	v_and_or_b32 v0, v1, s15, v0
	v_cmp_ne_u32_e32 vcc, 0, v0
	v_and_or_b32 v5, v6, s15, v5
	v_lshrrev_b32_e32 v3, 8, v1
	v_bfe_u32 v7, v1, 20, 11
	v_cndmask_b32_e64 v0, 0, 1, vcc
	v_cmp_ne_u32_e32 vcc, 0, v5
	v_lshrrev_b32_e32 v8, 8, v6
	v_bfe_u32 v11, v6, 20, 11
	v_sub_u32_e32 v12, 0x3f1, v7
	v_cndmask_b32_e64 v5, 0, 1, vcc
	v_and_or_b32 v0, v3, s10, v0
	v_sub_u32_e32 v13, 0x3f1, v11
	v_med3_i32 v3, v12, 0, 13
	v_and_or_b32 v5, v8, s10, v5
	v_or_b32_e32 v12, 0x1000, v0
	v_add_u32_e32 v7, 0xfffffc10, v7
	v_med3_i32 v8, v13, 0, 13
	v_cmp_ne_u32_e32 vcc, 0, v0
	v_or_b32_e32 v14, 0x1000, v5
	v_lshrrev_b32_e32 v16, v3, v12
	v_add_u32_e32 v11, 0xfffffc10, v11
	v_lshl_or_b32 v13, v7, 12, v0
	v_cndmask_b32_e64 v0, 0, 1, vcc
	v_cmp_ne_u32_e32 vcc, 0, v5
	v_lshrrev_b32_e32 v17, v8, v14
	v_lshlrev_b32_e32 v3, v3, v16
	v_lshl_or_b32 v15, v11, 12, v5
	v_cndmask_b32_e64 v5, 0, 1, vcc
	v_lshlrev_b32_e32 v8, v8, v17
	v_cmp_ne_u32_e32 vcc, v3, v12
	v_cndmask_b32_e64 v3, 0, 1, vcc
	v_cmp_ne_u32_e32 vcc, v8, v14
	v_cndmask_b32_e64 v8, 0, 1, vcc
	v_or_b32_e32 v3, v16, v3
	v_cmp_gt_i32_e32 vcc, 1, v7
	v_cndmask_b32_e32 v3, v13, v3, vcc
	v_or_b32_e32 v8, v17, v8
	v_cmp_gt_i32_e32 vcc, 1, v11
	v_and_b32_e32 v12, 7, v3
	v_cndmask_b32_e32 v8, v15, v8, vcc
	v_cmp_lt_i32_e32 vcc, 5, v12
	v_cmp_eq_u32_e64 s[0:1], 3, v12
	v_lshrrev_b32_e32 v3, 2, v3
	v_and_b32_e32 v13, 7, v8
	s_or_b64 vcc, s[0:1], vcc
	v_cmp_lt_i32_e64 s[2:3], 5, v13
	v_cmp_eq_u32_e64 s[4:5], 3, v13
	v_addc_co_u32_e32 v3, vcc, 0, v3, vcc
	v_lshrrev_b32_e32 v8, 2, v8
	s_or_b64 vcc, s[4:5], s[2:3]
	v_addc_co_u32_e32 v8, vcc, 0, v8, vcc
	v_cmp_gt_i32_e32 vcc, 31, v7
	v_cndmask_b32_e32 v3, v4, v3, vcc
	v_cmp_gt_i32_e32 vcc, 31, v11
	v_lshl_or_b32 v0, v0, 9, v4
	v_lshl_or_b32 v5, v5, 9, v4
	v_cndmask_b32_e32 v4, v4, v8, vcc
	v_cmp_eq_u32_e32 vcc, s11, v7
	v_lshrrev_b32_e32 v1, 16, v1
	v_cndmask_b32_e32 v0, v3, v0, vcc
	v_cmp_eq_u32_e32 vcc, s11, v11
	v_lshrrev_b32_e32 v6, 16, v6
	v_cndmask_b32_e32 v3, v4, v5, vcc
	v_and_or_b32 v0, v1, s14, v0
	v_and_or_b32 v1, v6, s14, v3
	v_and_b32_e32 v0, 0xffff, v0
	v_lshl_or_b32 v3, v1, 16, v0
	v_add_co_u32_e32 v0, vcc, s6, v9
	v_addc_co_u32_e32 v1, vcc, v10, v2, vcc
	global_store_dword v[0:1], v3, off
.LBB0_15:
	s_endpgm
	.section	.rodata,"a",@progbits
	.p2align	6, 0x0
	.amdhsa_kernel bluestein_single_fwd_len1782_dim1_half_op_CI_CI
		.amdhsa_group_segment_fixed_size 7128
		.amdhsa_private_segment_fixed_size 0
		.amdhsa_kernarg_size 104
		.amdhsa_user_sgpr_count 6
		.amdhsa_user_sgpr_private_segment_buffer 1
		.amdhsa_user_sgpr_dispatch_ptr 0
		.amdhsa_user_sgpr_queue_ptr 0
		.amdhsa_user_sgpr_kernarg_segment_ptr 1
		.amdhsa_user_sgpr_dispatch_id 0
		.amdhsa_user_sgpr_flat_scratch_init 0
		.amdhsa_user_sgpr_private_segment_size 0
		.amdhsa_uses_dynamic_stack 0
		.amdhsa_system_sgpr_private_segment_wavefront_offset 0
		.amdhsa_system_sgpr_workgroup_id_x 1
		.amdhsa_system_sgpr_workgroup_id_y 0
		.amdhsa_system_sgpr_workgroup_id_z 0
		.amdhsa_system_sgpr_workgroup_info 0
		.amdhsa_system_vgpr_workitem_id 0
		.amdhsa_next_free_vgpr 167
		.amdhsa_next_free_sgpr 39
		.amdhsa_reserve_vcc 1
		.amdhsa_reserve_flat_scratch 0
		.amdhsa_float_round_mode_32 0
		.amdhsa_float_round_mode_16_64 0
		.amdhsa_float_denorm_mode_32 3
		.amdhsa_float_denorm_mode_16_64 3
		.amdhsa_dx10_clamp 1
		.amdhsa_ieee_mode 1
		.amdhsa_fp16_overflow 0
		.amdhsa_exception_fp_ieee_invalid_op 0
		.amdhsa_exception_fp_denorm_src 0
		.amdhsa_exception_fp_ieee_div_zero 0
		.amdhsa_exception_fp_ieee_overflow 0
		.amdhsa_exception_fp_ieee_underflow 0
		.amdhsa_exception_fp_ieee_inexact 0
		.amdhsa_exception_int_div_zero 0
	.end_amdhsa_kernel
	.text
.Lfunc_end0:
	.size	bluestein_single_fwd_len1782_dim1_half_op_CI_CI, .Lfunc_end0-bluestein_single_fwd_len1782_dim1_half_op_CI_CI
                                        ; -- End function
	.section	.AMDGPU.csdata,"",@progbits
; Kernel info:
; codeLenInByte = 36504
; NumSgprs: 43
; NumVgprs: 167
; ScratchSize: 0
; MemoryBound: 0
; FloatMode: 240
; IeeeMode: 1
; LDSByteSize: 7128 bytes/workgroup (compile time only)
; SGPRBlocks: 5
; VGPRBlocks: 41
; NumSGPRsForWavesPerEU: 43
; NumVGPRsForWavesPerEU: 167
; Occupancy: 1
; WaveLimiterHint : 1
; COMPUTE_PGM_RSRC2:SCRATCH_EN: 0
; COMPUTE_PGM_RSRC2:USER_SGPR: 6
; COMPUTE_PGM_RSRC2:TRAP_HANDLER: 0
; COMPUTE_PGM_RSRC2:TGID_X_EN: 1
; COMPUTE_PGM_RSRC2:TGID_Y_EN: 0
; COMPUTE_PGM_RSRC2:TGID_Z_EN: 0
; COMPUTE_PGM_RSRC2:TIDIG_COMP_CNT: 0
	.type	__hip_cuid_66256a272d164a4c,@object ; @__hip_cuid_66256a272d164a4c
	.section	.bss,"aw",@nobits
	.globl	__hip_cuid_66256a272d164a4c
__hip_cuid_66256a272d164a4c:
	.byte	0                               ; 0x0
	.size	__hip_cuid_66256a272d164a4c, 1

	.ident	"AMD clang version 19.0.0git (https://github.com/RadeonOpenCompute/llvm-project roc-6.4.0 25133 c7fe45cf4b819c5991fe208aaa96edf142730f1d)"
	.section	".note.GNU-stack","",@progbits
	.addrsig
	.addrsig_sym __hip_cuid_66256a272d164a4c
	.amdgpu_metadata
---
amdhsa.kernels:
  - .args:
      - .actual_access:  read_only
        .address_space:  global
        .offset:         0
        .size:           8
        .value_kind:     global_buffer
      - .actual_access:  read_only
        .address_space:  global
        .offset:         8
        .size:           8
        .value_kind:     global_buffer
      - .actual_access:  read_only
        .address_space:  global
        .offset:         16
        .size:           8
        .value_kind:     global_buffer
      - .actual_access:  read_only
        .address_space:  global
        .offset:         24
        .size:           8
        .value_kind:     global_buffer
      - .actual_access:  read_only
        .address_space:  global
        .offset:         32
        .size:           8
        .value_kind:     global_buffer
      - .offset:         40
        .size:           8
        .value_kind:     by_value
      - .address_space:  global
        .offset:         48
        .size:           8
        .value_kind:     global_buffer
      - .address_space:  global
        .offset:         56
        .size:           8
        .value_kind:     global_buffer
      - .address_space:  global
        .offset:         64
        .size:           8
        .value_kind:     global_buffer
      - .address_space:  global
        .offset:         72
        .size:           8
        .value_kind:     global_buffer
      - .offset:         80
        .size:           4
        .value_kind:     by_value
      - .address_space:  global
        .offset:         88
        .size:           8
        .value_kind:     global_buffer
      - .address_space:  global
        .offset:         96
        .size:           8
        .value_kind:     global_buffer
    .group_segment_fixed_size: 7128
    .kernarg_segment_align: 8
    .kernarg_segment_size: 104
    .language:       OpenCL C
    .language_version:
      - 2
      - 0
    .max_flat_workgroup_size: 99
    .name:           bluestein_single_fwd_len1782_dim1_half_op_CI_CI
    .private_segment_fixed_size: 0
    .sgpr_count:     43
    .sgpr_spill_count: 0
    .symbol:         bluestein_single_fwd_len1782_dim1_half_op_CI_CI.kd
    .uniform_work_group_size: 1
    .uses_dynamic_stack: false
    .vgpr_count:     167
    .vgpr_spill_count: 0
    .wavefront_size: 64
amdhsa.target:   amdgcn-amd-amdhsa--gfx906
amdhsa.version:
  - 1
  - 2
...

	.end_amdgpu_metadata
